;; amdgpu-corpus repo=ROCm/rocFFT kind=compiled arch=gfx906 opt=O3
	.text
	.amdgcn_target "amdgcn-amd-amdhsa--gfx906"
	.amdhsa_code_object_version 6
	.protected	bluestein_single_back_len1925_dim1_dp_op_CI_CI ; -- Begin function bluestein_single_back_len1925_dim1_dp_op_CI_CI
	.globl	bluestein_single_back_len1925_dim1_dp_op_CI_CI
	.p2align	8
	.type	bluestein_single_back_len1925_dim1_dp_op_CI_CI,@function
bluestein_single_back_len1925_dim1_dp_op_CI_CI: ; @bluestein_single_back_len1925_dim1_dp_op_CI_CI
; %bb.0:
	s_load_dwordx4 s[12:15], s[4:5], 0x28
	s_mov_b64 s[46:47], s[2:3]
	v_mul_u32_u24_e32 v1, 0x4a8, v0
	s_mov_b64 s[44:45], s[0:1]
	v_add_u32_sdwa v3, s6, v1 dst_sel:DWORD dst_unused:UNUSED_PAD src0_sel:DWORD src1_sel:WORD_1
	v_mov_b32_e32 v4, 0
	s_add_u32 s44, s44, s7
	s_waitcnt lgkmcnt(0)
	v_cmp_gt_u64_e32 vcc, s[12:13], v[3:4]
	s_addc_u32 s45, s45, 0
	s_and_saveexec_b64 s[0:1], vcc
	s_cbranch_execz .LBB0_10
; %bb.1:
	s_load_dwordx4 s[8:11], s[4:5], 0x0
	s_load_dwordx4 s[16:19], s[4:5], 0x18
	s_load_dwordx2 s[12:13], s[4:5], 0x38
	v_mov_b32_e32 v2, 55
	v_mul_lo_u16_sdwa v1, v1, v2 dst_sel:DWORD dst_unused:UNUSED_PAD src0_sel:WORD_1 src1_sel:DWORD
	v_mov_b32_e32 v2, v3
	s_waitcnt lgkmcnt(0)
	s_load_dwordx4 s[0:3], s[16:17], 0x0
	s_load_dwordx4 s[4:7], s[18:19], 0x0
	v_sub_u16_e32 v176, v0, v1
	v_lshlrev_b32_e32 v254, 4, v176
	s_mov_b32 s28, 0x37e14327
	s_waitcnt lgkmcnt(0)
	v_mad_u64_u32 v[0:1], s[16:17], s2, v3, 0
	buffer_store_dword v2, off, s[44:47], 0 offset:484 ; 4-byte Folded Spill
	s_nop 0
	buffer_store_dword v3, off, s[44:47], 0 offset:488 ; 4-byte Folded Spill
	global_load_dwordx4 v[14:17], v254, s[8:9]
	s_mov_b32 s26, 0xe976ee23
	s_mov_b32 s29, 0x3fe948f6
	;; [unrolled: 1-line block ×13, first 2 shown]
	v_mad_u64_u32 v[1:2], s[2:3], s3, v3, v[1:2]
	v_mad_u64_u32 v[2:3], s[2:3], s0, v176, 0
	v_lshlrev_b64 v[0:1], 4, v[0:1]
	v_mad_u64_u32 v[3:4], s[2:3], s1, v176, v[3:4]
	v_add_co_u32_e32 v4, vcc, s14, v0
	v_mov_b32_e32 v0, s15
	v_addc_co_u32_e32 v5, vcc, v0, v1, vcc
	v_lshlrev_b64 v[0:1], 4, v[2:3]
	s_mul_i32 s2, s1, 0x1130
	v_add_co_u32_e32 v8, vcc, v4, v0
	v_addc_co_u32_e32 v9, vcc, v5, v1, vcc
	global_load_dwordx4 v[0:3], v[8:9], off
	v_add_co_u32_e32 v12, vcc, s8, v254
	v_mov_b32_e32 v4, s9
	v_addc_co_u32_e32 v13, vcc, 0, v4, vcc
	s_mul_hi_u32 s3, s0, 0x1130
	s_add_i32 s2, s3, s2
	s_mul_i32 s3, s0, 0x1130
	v_add_co_u32_e32 v10, vcc, s3, v8
	s_movk_i32 s14, 0x1000
	s_mulk_i32 s1, 0x9c50
	s_waitcnt vmcnt(0)
	v_mul_f64 v[4:5], v[2:3], v[16:17]
	v_fma_f64 v[4:5], v[0:1], v[14:15], v[4:5]
	v_mul_f64 v[0:1], v[0:1], v[16:17]
	buffer_store_dword v14, off, s[44:47], 0 offset:636 ; 4-byte Folded Spill
	s_nop 0
	buffer_store_dword v15, off, s[44:47], 0 offset:640 ; 4-byte Folded Spill
	buffer_store_dword v16, off, s[44:47], 0 offset:644 ; 4-byte Folded Spill
	;; [unrolled: 1-line block ×3, first 2 shown]
	v_fma_f64 v[6:7], v[2:3], v[14:15], -v[0:1]
	v_mov_b32_e32 v0, s2
	v_addc_co_u32_e32 v11, vcc, v9, v0, vcc
	v_add_co_u32_e32 v0, vcc, s14, v12
	v_addc_co_u32_e32 v1, vcc, 0, v13, vcc
	ds_write_b128 v254, v[4:7]
	global_load_dwordx4 v[2:5], v[10:11], off
	global_load_dwordx4 v[14:17], v[0:1], off offset:304
	s_movk_i32 s14, 0x2000
	s_waitcnt vmcnt(0)
	v_mul_f64 v[6:7], v[4:5], v[16:17]
	v_fma_f64 v[6:7], v[2:3], v[14:15], v[6:7]
	v_mul_f64 v[2:3], v[2:3], v[16:17]
	buffer_store_dword v14, off, s[44:47], 0 offset:164 ; 4-byte Folded Spill
	s_nop 0
	buffer_store_dword v15, off, s[44:47], 0 offset:168 ; 4-byte Folded Spill
	buffer_store_dword v16, off, s[44:47], 0 offset:172 ; 4-byte Folded Spill
	;; [unrolled: 1-line block ×3, first 2 shown]
	v_fma_f64 v[8:9], v[4:5], v[14:15], -v[2:3]
	v_add_co_u32_e32 v14, vcc, s3, v10
	v_mov_b32_e32 v2, s2
	v_addc_co_u32_e32 v15, vcc, v11, v2, vcc
	v_add_co_u32_e32 v2, vcc, s14, v12
	v_addc_co_u32_e32 v3, vcc, 0, v13, vcc
	ds_write_b128 v254, v[6:9] offset:4400
	global_load_dwordx4 v[4:7], v[14:15], off
	global_load_dwordx4 v[16:19], v[2:3], off offset:608
	s_movk_i32 s14, 0x3000
	s_waitcnt vmcnt(0)
	v_mul_f64 v[8:9], v[6:7], v[18:19]
	v_fma_f64 v[8:9], v[4:5], v[16:17], v[8:9]
	v_mul_f64 v[4:5], v[4:5], v[18:19]
	buffer_store_dword v16, off, s[44:47], 0 offset:196 ; 4-byte Folded Spill
	s_nop 0
	buffer_store_dword v17, off, s[44:47], 0 offset:200 ; 4-byte Folded Spill
	buffer_store_dword v18, off, s[44:47], 0 offset:204 ; 4-byte Folded Spill
	;; [unrolled: 1-line block ×3, first 2 shown]
	v_fma_f64 v[10:11], v[6:7], v[16:17], -v[4:5]
	v_mov_b32_e32 v4, s2
	ds_write_b128 v254, v[8:11] offset:8800
	v_add_co_u32_e32 v8, vcc, s3, v14
	v_addc_co_u32_e32 v9, vcc, v15, v4, vcc
	v_add_co_u32_e32 v10, vcc, s14, v12
	v_addc_co_u32_e32 v11, vcc, 0, v13, vcc
	global_load_dwordx4 v[4:7], v[8:9], off
	global_load_dwordx4 v[16:19], v[10:11], off offset:912
	s_movk_i32 s14, 0x4000
	s_waitcnt vmcnt(0)
	v_mul_f64 v[14:15], v[6:7], v[18:19]
	v_fma_f64 v[14:15], v[4:5], v[16:17], v[14:15]
	v_mul_f64 v[4:5], v[4:5], v[18:19]
	buffer_store_dword v16, off, s[44:47], 0 offset:180 ; 4-byte Folded Spill
	s_nop 0
	buffer_store_dword v17, off, s[44:47], 0 offset:184 ; 4-byte Folded Spill
	buffer_store_dword v18, off, s[44:47], 0 offset:188 ; 4-byte Folded Spill
	;; [unrolled: 1-line block ×3, first 2 shown]
	v_fma_f64 v[16:17], v[6:7], v[16:17], -v[4:5]
	v_add_co_u32_e32 v4, vcc, s3, v8
	v_mov_b32_e32 v5, s2
	v_addc_co_u32_e32 v5, vcc, v9, v5, vcc
	v_add_co_u32_e32 v6, vcc, s14, v12
	v_addc_co_u32_e32 v7, vcc, 0, v13, vcc
	ds_write_b128 v254, v[14:17] offset:13200
	global_load_dwordx4 v[14:17], v[4:5], off
	global_load_dwordx4 v[20:23], v[6:7], off offset:1216
	v_add_co_u32_e32 v4, vcc, s3, v4
	s_movk_i32 s14, 0x5000
	s_waitcnt vmcnt(0)
	v_mul_f64 v[8:9], v[16:17], v[22:23]
	v_fma_f64 v[18:19], v[14:15], v[20:21], v[8:9]
	v_mul_f64 v[8:9], v[14:15], v[22:23]
	buffer_store_dword v20, off, s[44:47], 0 offset:228 ; 4-byte Folded Spill
	s_nop 0
	buffer_store_dword v21, off, s[44:47], 0 offset:232 ; 4-byte Folded Spill
	buffer_store_dword v22, off, s[44:47], 0 offset:236 ; 4-byte Folded Spill
	;; [unrolled: 1-line block ×3, first 2 shown]
	v_fma_f64 v[20:21], v[16:17], v[20:21], -v[8:9]
	v_mov_b32_e32 v8, s2
	v_addc_co_u32_e32 v5, vcc, v5, v8, vcc
	v_add_co_u32_e32 v8, vcc, s14, v12
	v_addc_co_u32_e32 v9, vcc, 0, v13, vcc
	ds_write_b128 v254, v[18:21] offset:17600
	global_load_dwordx4 v[14:17], v[4:5], off
	global_load_dwordx4 v[20:23], v[8:9], off offset:1520
	s_movk_i32 s14, 0x6000
	s_waitcnt vmcnt(0)
	v_mul_f64 v[18:19], v[16:17], v[22:23]
	v_fma_f64 v[18:19], v[14:15], v[20:21], v[18:19]
	v_mul_f64 v[14:15], v[14:15], v[22:23]
	buffer_store_dword v20, off, s[44:47], 0 offset:212 ; 4-byte Folded Spill
	s_nop 0
	buffer_store_dword v21, off, s[44:47], 0 offset:216 ; 4-byte Folded Spill
	buffer_store_dword v22, off, s[44:47], 0 offset:220 ; 4-byte Folded Spill
	;; [unrolled: 1-line block ×3, first 2 shown]
	v_add_co_u32_e32 v22, vcc, s3, v4
	v_mov_b32_e32 v4, s2
	v_addc_co_u32_e32 v23, vcc, v5, v4, vcc
	v_add_co_u32_e32 v4, vcc, s14, v12
	v_addc_co_u32_e32 v5, vcc, 0, v13, vcc
	global_load_dwordx4 v[24:27], v[4:5], off offset:1824
	v_add_co_u32_e32 v196, vcc, 55, v176
	v_fma_f64 v[20:21], v[16:17], v[20:21], -v[14:15]
	global_load_dwordx4 v[14:17], v[22:23], off
	ds_write_b128 v254, v[18:21] offset:22000
	s_waitcnt vmcnt(0)
	v_mul_f64 v[18:19], v[16:17], v[26:27]
	v_fma_f64 v[18:19], v[14:15], v[24:25], v[18:19]
	v_mul_f64 v[14:15], v[14:15], v[26:27]
	buffer_store_dword v24, off, s[44:47], 0 offset:244 ; 4-byte Folded Spill
	s_nop 0
	buffer_store_dword v25, off, s[44:47], 0 offset:248 ; 4-byte Folded Spill
	buffer_store_dword v26, off, s[44:47], 0 offset:252 ; 4-byte Folded Spill
	;; [unrolled: 1-line block ×3, first 2 shown]
	v_fma_f64 v[20:21], v[16:17], v[24:25], -v[14:15]
	v_addc_co_u32_e64 v14, s[14:15], 0, 0, vcc
	s_mul_hi_u32 s14, s0, 0xffff9c50
	s_sub_i32 s14, s14, s0
	s_add_i32 s1, s14, s1
	s_mulk_i32 s0, 0x9c50
	buffer_store_dword v14, off, s[44:47], 0 offset:1304 ; 4-byte Folded Spill
	v_add_co_u32_e32 v22, vcc, s0, v22
	v_mov_b32_e32 v14, s1
	ds_write_b128 v254, v[18:21] offset:26400
	v_addc_co_u32_e32 v23, vcc, v23, v14, vcc
	global_load_dwordx4 v[14:17], v[22:23], off
	global_load_dwordx4 v[24:27], v254, s[8:9] offset:880
	v_add_co_u32_e32 v22, vcc, s3, v22
	s_movk_i32 s14, 0x6e
	s_waitcnt vmcnt(0)
	v_mul_f64 v[18:19], v[16:17], v[26:27]
	v_fma_f64 v[18:19], v[14:15], v[24:25], v[18:19]
	v_mul_f64 v[14:15], v[14:15], v[26:27]
	buffer_store_dword v24, off, s[44:47], 0 offset:260 ; 4-byte Folded Spill
	s_nop 0
	buffer_store_dword v25, off, s[44:47], 0 offset:264 ; 4-byte Folded Spill
	buffer_store_dword v26, off, s[44:47], 0 offset:268 ; 4-byte Folded Spill
	buffer_store_dword v27, off, s[44:47], 0 offset:272 ; 4-byte Folded Spill
	v_fma_f64 v[20:21], v[16:17], v[24:25], -v[14:15]
	v_mov_b32_e32 v14, s2
	v_addc_co_u32_e32 v23, vcc, v23, v14, vcc
	ds_write_b128 v254, v[18:21] offset:880
	global_load_dwordx4 v[14:17], v[22:23], off
	global_load_dwordx4 v[24:27], v[0:1], off offset:1184
	v_add_co_u32_e32 v22, vcc, s3, v22
	s_waitcnt vmcnt(0)
	v_mul_f64 v[18:19], v[16:17], v[26:27]
	v_fma_f64 v[18:19], v[14:15], v[24:25], v[18:19]
	v_mul_f64 v[14:15], v[14:15], v[26:27]
	buffer_store_dword v24, off, s[44:47], 0 offset:276 ; 4-byte Folded Spill
	s_nop 0
	buffer_store_dword v25, off, s[44:47], 0 offset:280 ; 4-byte Folded Spill
	buffer_store_dword v26, off, s[44:47], 0 offset:284 ; 4-byte Folded Spill
	buffer_store_dword v27, off, s[44:47], 0 offset:288 ; 4-byte Folded Spill
	v_fma_f64 v[20:21], v[16:17], v[24:25], -v[14:15]
	v_mov_b32_e32 v14, s2
	v_addc_co_u32_e32 v23, vcc, v23, v14, vcc
	ds_write_b128 v254, v[18:21] offset:5280
	global_load_dwordx4 v[14:17], v[22:23], off
	global_load_dwordx4 v[24:27], v[2:3], off offset:1488
	v_add_co_u32_e32 v22, vcc, s3, v22
	;; [unrolled: 16-line block ×5, first 2 shown]
	s_waitcnt vmcnt(0)
	v_mul_f64 v[18:19], v[16:17], v[26:27]
	v_fma_f64 v[18:19], v[14:15], v[24:25], v[18:19]
	v_mul_f64 v[14:15], v[14:15], v[26:27]
	buffer_store_dword v24, off, s[44:47], 0 offset:340 ; 4-byte Folded Spill
	s_nop 0
	buffer_store_dword v25, off, s[44:47], 0 offset:344 ; 4-byte Folded Spill
	buffer_store_dword v26, off, s[44:47], 0 offset:348 ; 4-byte Folded Spill
	buffer_store_dword v27, off, s[44:47], 0 offset:352 ; 4-byte Folded Spill
	v_fma_f64 v[20:21], v[16:17], v[24:25], -v[14:15]
	v_mov_b32_e32 v14, s2
	v_addc_co_u32_e32 v23, vcc, v23, v14, vcc
	v_add_co_u32_e32 v255, vcc, s14, v176
	s_movk_i32 s14, 0xa5
	ds_write_b128 v254, v[18:21] offset:22880
	global_load_dwordx4 v[14:17], v[22:23], off
	global_load_dwordx4 v[24:27], v[4:5], off offset:2704
	v_add_co_u32_e32 v22, vcc, s0, v22
	s_waitcnt vmcnt(0)
	v_mul_f64 v[18:19], v[16:17], v[26:27]
	v_fma_f64 v[18:19], v[14:15], v[24:25], v[18:19]
	v_mul_f64 v[14:15], v[14:15], v[26:27]
	buffer_store_dword v24, off, s[44:47], 0 offset:356 ; 4-byte Folded Spill
	s_nop 0
	buffer_store_dword v25, off, s[44:47], 0 offset:360 ; 4-byte Folded Spill
	buffer_store_dword v26, off, s[44:47], 0 offset:364 ; 4-byte Folded Spill
	;; [unrolled: 1-line block ×3, first 2 shown]
	v_fma_f64 v[20:21], v[16:17], v[24:25], -v[14:15]
	v_mov_b32_e32 v14, s1
	v_addc_co_u32_e32 v23, vcc, v23, v14, vcc
	ds_write_b128 v254, v[18:21] offset:27280
	global_load_dwordx4 v[14:17], v[22:23], off
	global_load_dwordx4 v[24:27], v254, s[8:9] offset:1760
	v_add_co_u32_e32 v22, vcc, s3, v22
	s_waitcnt vmcnt(0)
	v_mul_f64 v[18:19], v[16:17], v[26:27]
	v_fma_f64 v[18:19], v[14:15], v[24:25], v[18:19]
	v_mul_f64 v[14:15], v[14:15], v[26:27]
	buffer_store_dword v24, off, s[44:47], 0 offset:372 ; 4-byte Folded Spill
	s_nop 0
	buffer_store_dword v25, off, s[44:47], 0 offset:376 ; 4-byte Folded Spill
	buffer_store_dword v26, off, s[44:47], 0 offset:380 ; 4-byte Folded Spill
	buffer_store_dword v27, off, s[44:47], 0 offset:384 ; 4-byte Folded Spill
	v_fma_f64 v[20:21], v[16:17], v[24:25], -v[14:15]
	v_mov_b32_e32 v14, s2
	v_addc_co_u32_e32 v23, vcc, v23, v14, vcc
	ds_write_b128 v254, v[18:21] offset:1760
	global_load_dwordx4 v[14:17], v[22:23], off
	global_load_dwordx4 v[24:27], v[0:1], off offset:2064
	v_add_co_u32_e32 v22, vcc, s3, v22
	s_waitcnt vmcnt(0)
	v_mul_f64 v[18:19], v[16:17], v[26:27]
	v_fma_f64 v[18:19], v[14:15], v[24:25], v[18:19]
	v_mul_f64 v[14:15], v[14:15], v[26:27]
	buffer_store_dword v24, off, s[44:47], 0 offset:388 ; 4-byte Folded Spill
	s_nop 0
	buffer_store_dword v25, off, s[44:47], 0 offset:392 ; 4-byte Folded Spill
	buffer_store_dword v26, off, s[44:47], 0 offset:396 ; 4-byte Folded Spill
	buffer_store_dword v27, off, s[44:47], 0 offset:400 ; 4-byte Folded Spill
	v_fma_f64 v[20:21], v[16:17], v[24:25], -v[14:15]
	v_mov_b32_e32 v14, s2
	v_addc_co_u32_e32 v23, vcc, v23, v14, vcc
	ds_write_b128 v254, v[18:21] offset:6160
	global_load_dwordx4 v[14:17], v[22:23], off
	global_load_dwordx4 v[24:27], v[2:3], off offset:2368
	;; [unrolled: 16-line block ×5, first 2 shown]
	v_add_co_u32_e32 v22, vcc, s3, v22
	s_waitcnt vmcnt(0)
	v_mul_f64 v[18:19], v[16:17], v[26:27]
	v_fma_f64 v[18:19], v[14:15], v[24:25], v[18:19]
	v_mul_f64 v[14:15], v[14:15], v[26:27]
	buffer_store_dword v24, off, s[44:47], 0 offset:452 ; 4-byte Folded Spill
	s_nop 0
	buffer_store_dword v25, off, s[44:47], 0 offset:456 ; 4-byte Folded Spill
	buffer_store_dword v26, off, s[44:47], 0 offset:460 ; 4-byte Folded Spill
	;; [unrolled: 1-line block ×3, first 2 shown]
	v_fma_f64 v[20:21], v[16:17], v[24:25], -v[14:15]
	v_mov_b32_e32 v14, s2
	v_addc_co_u32_e32 v23, vcc, v23, v14, vcc
	v_add_co_u32_e32 v159, vcc, s14, v176
	s_movk_i32 s14, 0x7000
	ds_write_b128 v254, v[18:21] offset:23760
	global_load_dwordx4 v[14:17], v[22:23], off
	global_load_dwordx4 v[24:27], v[4:5], off offset:3584
	v_add_co_u32_e32 v22, vcc, s0, v22
	s_waitcnt vmcnt(0)
	v_mul_f64 v[18:19], v[16:17], v[26:27]
	v_fma_f64 v[18:19], v[14:15], v[24:25], v[18:19]
	v_mul_f64 v[14:15], v[14:15], v[26:27]
	buffer_store_dword v24, off, s[44:47], 0 offset:468 ; 4-byte Folded Spill
	s_nop 0
	buffer_store_dword v25, off, s[44:47], 0 offset:472 ; 4-byte Folded Spill
	buffer_store_dword v26, off, s[44:47], 0 offset:476 ; 4-byte Folded Spill
	;; [unrolled: 1-line block ×3, first 2 shown]
	v_fma_f64 v[20:21], v[16:17], v[24:25], -v[14:15]
	v_mov_b32_e32 v14, s1
	v_addc_co_u32_e32 v23, vcc, v23, v14, vcc
	ds_write_b128 v254, v[18:21] offset:28160
	global_load_dwordx4 v[14:17], v[22:23], off
	global_load_dwordx4 v[24:27], v254, s[8:9] offset:2640
	v_add_co_u32_e32 v22, vcc, s3, v22
	s_waitcnt vmcnt(0)
	v_mul_f64 v[18:19], v[16:17], v[26:27]
	v_fma_f64 v[18:19], v[14:15], v[24:25], v[18:19]
	v_mul_f64 v[14:15], v[14:15], v[26:27]
	buffer_store_dword v24, off, s[44:47], 0 offset:508 ; 4-byte Folded Spill
	s_nop 0
	buffer_store_dword v25, off, s[44:47], 0 offset:512 ; 4-byte Folded Spill
	buffer_store_dword v26, off, s[44:47], 0 offset:516 ; 4-byte Folded Spill
	;; [unrolled: 1-line block ×3, first 2 shown]
	v_fma_f64 v[20:21], v[16:17], v[24:25], -v[14:15]
	v_mov_b32_e32 v14, s2
	v_addc_co_u32_e32 v23, vcc, v23, v14, vcc
	ds_write_b128 v254, v[18:21] offset:2640
	global_load_dwordx4 v[14:17], v[22:23], off
	global_load_dwordx4 v[24:27], v[0:1], off offset:2944
	v_add_co_u32_e32 v22, vcc, s3, v22
	s_waitcnt vmcnt(0)
	v_mul_f64 v[18:19], v[16:17], v[26:27]
	v_fma_f64 v[18:19], v[14:15], v[24:25], v[18:19]
	v_mul_f64 v[14:15], v[14:15], v[26:27]
	buffer_store_dword v24, off, s[44:47], 0 offset:524 ; 4-byte Folded Spill
	s_nop 0
	buffer_store_dword v25, off, s[44:47], 0 offset:528 ; 4-byte Folded Spill
	buffer_store_dword v26, off, s[44:47], 0 offset:532 ; 4-byte Folded Spill
	;; [unrolled: 1-line block ×3, first 2 shown]
	v_fma_f64 v[20:21], v[16:17], v[24:25], -v[14:15]
	v_mov_b32_e32 v14, s2
	v_addc_co_u32_e32 v23, vcc, v23, v14, vcc
	ds_write_b128 v254, v[18:21] offset:7040
	global_load_dwordx4 v[14:17], v[22:23], off
	global_load_dwordx4 v[24:27], v[2:3], off offset:3248
	s_waitcnt vmcnt(0)
	v_mul_f64 v[2:3], v[16:17], v[26:27]
	v_fma_f64 v[18:19], v[14:15], v[24:25], v[2:3]
	v_mul_f64 v[2:3], v[14:15], v[26:27]
	buffer_store_dword v24, off, s[44:47], 0 offset:556 ; 4-byte Folded Spill
	s_nop 0
	buffer_store_dword v25, off, s[44:47], 0 offset:560 ; 4-byte Folded Spill
	buffer_store_dword v26, off, s[44:47], 0 offset:564 ; 4-byte Folded Spill
	;; [unrolled: 1-line block ×3, first 2 shown]
	v_fma_f64 v[20:21], v[16:17], v[24:25], -v[2:3]
	v_add_co_u32_e32 v2, vcc, s3, v22
	v_mov_b32_e32 v3, s2
	v_addc_co_u32_e32 v3, vcc, v23, v3, vcc
	ds_write_b128 v254, v[18:21] offset:11440
	global_load_dwordx4 v[14:17], v[2:3], off
	global_load_dwordx4 v[20:23], v[10:11], off offset:3552
	v_add_co_u32_e32 v2, vcc, s3, v2
	s_waitcnt vmcnt(0)
	v_mul_f64 v[18:19], v[16:17], v[22:23]
	v_fma_f64 v[18:19], v[14:15], v[20:21], v[18:19]
	v_mul_f64 v[14:15], v[14:15], v[22:23]
	buffer_store_dword v20, off, s[44:47], 0 offset:572 ; 4-byte Folded Spill
	s_nop 0
	buffer_store_dword v21, off, s[44:47], 0 offset:576 ; 4-byte Folded Spill
	buffer_store_dword v22, off, s[44:47], 0 offset:580 ; 4-byte Folded Spill
	buffer_store_dword v23, off, s[44:47], 0 offset:584 ; 4-byte Folded Spill
	v_fma_f64 v[20:21], v[16:17], v[20:21], -v[14:15]
	v_mov_b32_e32 v14, s2
	v_addc_co_u32_e32 v3, vcc, v3, v14, vcc
	ds_write_b128 v254, v[18:21] offset:15840
	global_load_dwordx4 v[14:17], v[2:3], off
	global_load_dwordx4 v[20:23], v[6:7], off offset:3856
	v_add_co_u32_e32 v2, vcc, s3, v2
	s_waitcnt vmcnt(0)
	v_mul_f64 v[18:19], v[16:17], v[22:23]
	v_fma_f64 v[18:19], v[14:15], v[20:21], v[18:19]
	v_mul_f64 v[14:15], v[14:15], v[22:23]
	buffer_store_dword v20, off, s[44:47], 0 offset:604 ; 4-byte Folded Spill
	s_nop 0
	buffer_store_dword v21, off, s[44:47], 0 offset:608 ; 4-byte Folded Spill
	buffer_store_dword v22, off, s[44:47], 0 offset:612 ; 4-byte Folded Spill
	buffer_store_dword v23, off, s[44:47], 0 offset:616 ; 4-byte Folded Spill
	v_fma_f64 v[20:21], v[16:17], v[20:21], -v[14:15]
	;; [unrolled: 16-line block ×3, first 2 shown]
	v_mov_b32_e32 v14, s2
	v_addc_co_u32_e32 v3, vcc, v3, v14, vcc
	v_add_co_u32_e32 v12, vcc, s14, v12
	v_addc_co_u32_e32 v13, vcc, 0, v13, vcc
	ds_write_b128 v254, v[18:21] offset:24640
	global_load_dwordx4 v[14:17], v[2:3], off
	global_load_dwordx4 v[20:23], v[12:13], off offset:368
	s_movk_i32 s14, 0xdc
	v_add_co_u32_e32 v158, vcc, s14, v176
	v_add_co_u32_e32 v2, vcc, s0, v2
	s_mov_b32 s14, 0x36b3c0b5
	s_mov_b32 s15, 0x3fac98ee
	s_waitcnt vmcnt(0)
	v_mul_f64 v[18:19], v[16:17], v[22:23]
	v_fma_f64 v[18:19], v[14:15], v[20:21], v[18:19]
	v_mul_f64 v[14:15], v[14:15], v[22:23]
	buffer_store_dword v20, off, s[44:47], 0 offset:540 ; 4-byte Folded Spill
	s_nop 0
	buffer_store_dword v21, off, s[44:47], 0 offset:544 ; 4-byte Folded Spill
	buffer_store_dword v22, off, s[44:47], 0 offset:548 ; 4-byte Folded Spill
	buffer_store_dword v23, off, s[44:47], 0 offset:552 ; 4-byte Folded Spill
	v_fma_f64 v[20:21], v[16:17], v[20:21], -v[14:15]
	v_mov_b32_e32 v14, s1
	v_addc_co_u32_e32 v3, vcc, v3, v14, vcc
	s_mov_b32 s0, 0x37c3f68c
	s_mov_b32 s1, 0x3fdc38aa
	ds_write_b128 v254, v[18:21] offset:29040
	global_load_dwordx4 v[14:17], v[2:3], off
	global_load_dwordx4 v[20:23], v254, s[8:9] offset:3520
	s_waitcnt vmcnt(0)
	v_mul_f64 v[18:19], v[16:17], v[22:23]
	v_fma_f64 v[18:19], v[14:15], v[20:21], v[18:19]
	v_mul_f64 v[14:15], v[14:15], v[22:23]
	buffer_store_dword v20, off, s[44:47], 0 offset:588 ; 4-byte Folded Spill
	s_nop 0
	buffer_store_dword v21, off, s[44:47], 0 offset:592 ; 4-byte Folded Spill
	buffer_store_dword v22, off, s[44:47], 0 offset:596 ; 4-byte Folded Spill
	buffer_store_dword v23, off, s[44:47], 0 offset:600 ; 4-byte Folded Spill
	v_fma_f64 v[20:21], v[16:17], v[20:21], -v[14:15]
	ds_write_b128 v254, v[18:21] offset:3520
	v_add_co_u32_e32 v18, vcc, s3, v2
	v_mov_b32_e32 v2, s2
	v_addc_co_u32_e32 v19, vcc, v3, v2, vcc
	global_load_dwordx4 v[14:17], v[18:19], off
	global_load_dwordx4 v[20:23], v[0:1], off offset:3824
	s_waitcnt vmcnt(0)
	v_mul_f64 v[0:1], v[16:17], v[22:23]
	v_mul_f64 v[2:3], v[14:15], v[22:23]
	v_fma_f64 v[0:1], v[14:15], v[20:21], v[0:1]
	buffer_store_dword v20, off, s[44:47], 0 offset:620 ; 4-byte Folded Spill
	s_nop 0
	buffer_store_dword v21, off, s[44:47], 0 offset:624 ; 4-byte Folded Spill
	buffer_store_dword v22, off, s[44:47], 0 offset:628 ; 4-byte Folded Spill
	;; [unrolled: 1-line block ×3, first 2 shown]
	v_add_co_u32_e32 v14, vcc, s3, v18
	v_fma_f64 v[2:3], v[16:17], v[20:21], -v[2:3]
	ds_write_b128 v254, v[0:3] offset:7920
	v_mov_b32_e32 v0, s2
	v_addc_co_u32_e32 v15, vcc, v19, v0, vcc
	global_load_dwordx4 v[0:3], v[14:15], off
	global_load_dwordx4 v[18:21], v[10:11], off offset:32
	s_waitcnt vmcnt(0)
	v_mul_f64 v[10:11], v[2:3], v[20:21]
	v_fma_f64 v[16:17], v[0:1], v[18:19], v[10:11]
	v_mul_f64 v[0:1], v[0:1], v[20:21]
	buffer_store_dword v18, off, s[44:47], 0 offset:652 ; 4-byte Folded Spill
	s_nop 0
	buffer_store_dword v19, off, s[44:47], 0 offset:656 ; 4-byte Folded Spill
	buffer_store_dword v20, off, s[44:47], 0 offset:660 ; 4-byte Folded Spill
	;; [unrolled: 1-line block ×3, first 2 shown]
	v_add_co_u32_e32 v10, vcc, s3, v14
	v_fma_f64 v[18:19], v[2:3], v[18:19], -v[0:1]
	v_mov_b32_e32 v0, s2
	v_addc_co_u32_e32 v11, vcc, v15, v0, vcc
	ds_write_b128 v254, v[16:19] offset:12320
	global_load_dwordx4 v[0:3], v[10:11], off
	global_load_dwordx4 v[16:19], v[6:7], off offset:336
	v_add_co_u32_e32 v10, vcc, s3, v10
	s_waitcnt vmcnt(0)
	v_mul_f64 v[6:7], v[2:3], v[18:19]
	v_fma_f64 v[14:15], v[0:1], v[16:17], v[6:7]
	v_mul_f64 v[0:1], v[0:1], v[18:19]
	buffer_store_dword v16, off, s[44:47], 0 offset:668 ; 4-byte Folded Spill
	s_nop 0
	buffer_store_dword v17, off, s[44:47], 0 offset:672 ; 4-byte Folded Spill
	buffer_store_dword v18, off, s[44:47], 0 offset:676 ; 4-byte Folded Spill
	;; [unrolled: 1-line block ×3, first 2 shown]
	v_fma_f64 v[16:17], v[2:3], v[16:17], -v[0:1]
	v_mov_b32_e32 v0, s2
	v_addc_co_u32_e32 v11, vcc, v11, v0, vcc
	ds_write_b128 v254, v[14:17] offset:16720
	global_load_dwordx4 v[0:3], v[10:11], off
	global_load_dwordx4 v[14:17], v[8:9], off offset:640
	s_waitcnt vmcnt(0)
	v_mul_f64 v[6:7], v[2:3], v[16:17]
	v_fma_f64 v[6:7], v[0:1], v[14:15], v[6:7]
	v_mul_f64 v[0:1], v[0:1], v[16:17]
	buffer_store_dword v14, off, s[44:47], 0 offset:684 ; 4-byte Folded Spill
	s_nop 0
	buffer_store_dword v15, off, s[44:47], 0 offset:688 ; 4-byte Folded Spill
	buffer_store_dword v16, off, s[44:47], 0 offset:692 ; 4-byte Folded Spill
	;; [unrolled: 1-line block ×3, first 2 shown]
	v_fma_f64 v[8:9], v[2:3], v[14:15], -v[0:1]
	v_mov_b32_e32 v0, s2
	ds_write_b128 v254, v[6:9] offset:21120
	v_add_co_u32_e32 v8, vcc, s3, v10
	v_addc_co_u32_e32 v9, vcc, v11, v0, vcc
	global_load_dwordx4 v[0:3], v[8:9], off
	global_load_dwordx4 v[14:17], v[4:5], off offset:944
	s_waitcnt vmcnt(0)
	v_mul_f64 v[4:5], v[2:3], v[16:17]
	v_fma_f64 v[4:5], v[0:1], v[14:15], v[4:5]
	v_mul_f64 v[0:1], v[0:1], v[16:17]
	buffer_store_dword v14, off, s[44:47], 0 offset:700 ; 4-byte Folded Spill
	s_nop 0
	buffer_store_dword v15, off, s[44:47], 0 offset:704 ; 4-byte Folded Spill
	buffer_store_dword v16, off, s[44:47], 0 offset:708 ; 4-byte Folded Spill
	;; [unrolled: 1-line block ×3, first 2 shown]
	v_fma_f64 v[6:7], v[2:3], v[14:15], -v[0:1]
	v_add_co_u32_e32 v0, vcc, s3, v8
	v_mov_b32_e32 v1, s2
	v_addc_co_u32_e32 v1, vcc, v9, v1, vcc
	s_mov_b32 s2, 0x429ad128
	s_mov_b32 s3, 0x3febfeb5
	ds_write_b128 v254, v[4:7] offset:25520
	global_load_dwordx4 v[0:3], v[0:1], off
	s_nop 0
	global_load_dwordx4 v[6:9], v[12:13], off offset:1248
	s_waitcnt vmcnt(0)
	v_mul_f64 v[4:5], v[2:3], v[8:9]
	v_fma_f64 v[4:5], v[0:1], v[6:7], v[4:5]
	v_mul_f64 v[0:1], v[0:1], v[8:9]
	buffer_store_dword v6, off, s[44:47], 0 offset:716 ; 4-byte Folded Spill
	s_nop 0
	buffer_store_dword v7, off, s[44:47], 0 offset:720 ; 4-byte Folded Spill
	buffer_store_dword v8, off, s[44:47], 0 offset:724 ; 4-byte Folded Spill
	;; [unrolled: 1-line block ×3, first 2 shown]
	v_fma_f64 v[6:7], v[2:3], v[6:7], -v[0:1]
	ds_write_b128 v254, v[4:7] offset:29920
	s_waitcnt lgkmcnt(0)
	; wave barrier
	s_waitcnt lgkmcnt(0)
	ds_read_b128 v[4:7], v254
	ds_read_b128 v[8:11], v254 offset:4400
	ds_read_b128 v[12:15], v254 offset:8800
	;; [unrolled: 1-line block ×34, first 2 shown]
	s_waitcnt lgkmcnt(14)
	v_add_f64 v[140:141], v[8:9], v[28:29]
	v_add_f64 v[142:143], v[10:11], v[30:31]
	v_add_f64 v[8:9], v[8:9], -v[28:29]
	v_add_f64 v[10:11], v[10:11], -v[30:31]
	v_add_f64 v[28:29], v[12:13], v[24:25]
	v_add_f64 v[30:31], v[14:15], v[26:27]
	v_add_f64 v[12:13], v[12:13], -v[24:25]
	v_add_f64 v[14:15], v[14:15], -v[26:27]
	;; [unrolled: 4-line block ×4, first 2 shown]
	v_add_f64 v[140:141], v[140:141], -v[24:25]
	v_add_f64 v[142:143], v[142:143], -v[26:27]
	;; [unrolled: 1-line block ×4, first 2 shown]
	v_add_f64 v[148:149], v[16:17], v[12:13]
	v_add_f64 v[150:151], v[18:19], v[14:15]
	v_add_f64 v[152:153], v[16:17], -v[12:13]
	v_add_f64 v[154:155], v[18:19], -v[14:15]
	v_add_f64 v[20:21], v[24:25], v[20:21]
	v_add_f64 v[22:23], v[26:27], v[22:23]
	v_add_f64 v[16:17], v[8:9], -v[16:17]
	v_add_f64 v[18:19], v[10:11], -v[18:19]
	;; [unrolled: 1-line block ×4, first 2 shown]
	v_add_f64 v[8:9], v[148:149], v[8:9]
	v_add_f64 v[10:11], v[150:151], v[10:11]
	;; [unrolled: 1-line block ×4, first 2 shown]
	v_mul_f64 v[24:25], v[140:141], s[28:29]
	v_mul_f64 v[26:27], v[142:143], s[28:29]
	;; [unrolled: 1-line block ×8, first 2 shown]
	v_fma_f64 v[20:21], v[20:21], s[24:25], v[4:5]
	v_fma_f64 v[22:23], v[22:23], s[24:25], v[6:7]
	v_fma_f64 v[140:141], v[144:145], s[16:17], -v[140:141]
	v_fma_f64 v[142:143], v[146:147], s[16:17], -v[142:143]
	;; [unrolled: 1-line block ×4, first 2 shown]
	v_fma_f64 v[28:29], v[28:29], s[14:15], v[24:25]
	v_fma_f64 v[30:31], v[30:31], s[14:15], v[26:27]
	v_fma_f64 v[24:25], v[144:145], s[18:19], -v[24:25]
	v_fma_f64 v[26:27], v[146:147], s[18:19], -v[26:27]
	v_fma_f64 v[144:145], v[16:17], s[20:21], v[148:149]
	v_fma_f64 v[146:147], v[18:19], s[20:21], v[150:151]
	v_fma_f64 v[16:17], v[16:17], s[22:23], -v[152:153]
	v_fma_f64 v[18:19], v[18:19], s[22:23], -v[154:155]
	v_add_f64 v[140:141], v[140:141], v[20:21]
	v_add_f64 v[142:143], v[142:143], v[22:23]
	v_fma_f64 v[12:13], v[8:9], s[0:1], v[12:13]
	v_fma_f64 v[14:15], v[10:11], s[0:1], v[14:15]
	v_add_f64 v[148:149], v[28:29], v[20:21]
	v_add_f64 v[150:151], v[30:31], v[22:23]
	;; [unrolled: 1-line block ×4, first 2 shown]
	v_fma_f64 v[144:145], v[8:9], s[0:1], v[144:145]
	v_fma_f64 v[146:147], v[10:11], s[0:1], v[146:147]
	;; [unrolled: 1-line block ×4, first 2 shown]
	v_add_f64 v[20:21], v[140:141], -v[14:15]
	v_add_f64 v[22:23], v[12:13], v[142:143]
	v_add_f64 v[16:17], v[140:141], v[14:15]
	v_add_f64 v[18:19], v[142:143], -v[12:13]
	v_add_f64 v[140:141], v[36:37], v[56:57]
	v_add_f64 v[142:143], v[38:39], v[58:59]
	v_add_f64 v[36:37], v[36:37], -v[56:57]
	v_add_f64 v[38:39], v[38:39], -v[58:59]
	v_add_f64 v[56:57], v[44:45], v[52:53]
	v_add_f64 v[58:59], v[46:47], v[54:55]
	v_add_f64 v[44:45], v[44:45], -v[52:53]
	v_add_f64 v[46:47], v[46:47], -v[54:55]
	v_add_f64 v[52:53], v[40:41], v[48:49]
	v_add_f64 v[54:55], v[42:43], v[50:51]
	v_add_f64 v[40:41], v[48:49], -v[40:41]
	v_add_f64 v[42:43], v[50:51], -v[42:43]
	v_add_f64 v[48:49], v[56:57], v[140:141]
	v_add_f64 v[50:51], v[58:59], v[142:143]
	;; [unrolled: 1-line block ×3, first 2 shown]
	v_add_f64 v[30:31], v[150:151], -v[144:145]
	v_add_f64 v[24:25], v[152:153], v[10:11]
	v_add_f64 v[26:27], v[154:155], -v[8:9]
	v_add_f64 v[12:13], v[152:153], -v[10:11]
	v_add_f64 v[14:15], v[8:9], v[154:155]
	v_add_f64 v[8:9], v[148:149], -v[146:147]
	v_add_f64 v[10:11], v[144:145], v[150:151]
	v_add_f64 v[144:145], v[56:57], -v[140:141]
	v_add_f64 v[146:147], v[58:59], -v[142:143]
	;; [unrolled: 1-line block ×6, first 2 shown]
	v_add_f64 v[148:149], v[40:41], v[44:45]
	v_add_f64 v[150:151], v[42:43], v[46:47]
	v_add_f64 v[152:153], v[40:41], -v[44:45]
	v_add_f64 v[154:155], v[42:43], -v[46:47]
	v_add_f64 v[48:49], v[52:53], v[48:49]
	v_add_f64 v[50:51], v[54:55], v[50:51]
	v_add_f64 v[40:41], v[36:37], -v[40:41]
	v_add_f64 v[42:43], v[38:39], -v[42:43]
	;; [unrolled: 1-line block ×4, first 2 shown]
	v_add_f64 v[36:37], v[148:149], v[36:37]
	v_add_f64 v[38:39], v[150:151], v[38:39]
	;; [unrolled: 1-line block ×4, first 2 shown]
	v_mul_f64 v[52:53], v[140:141], s[28:29]
	v_mul_f64 v[54:55], v[142:143], s[28:29]
	;; [unrolled: 1-line block ×8, first 2 shown]
	v_fma_f64 v[48:49], v[48:49], s[24:25], v[32:33]
	v_fma_f64 v[50:51], v[50:51], s[24:25], v[34:35]
	v_fma_f64 v[140:141], v[144:145], s[16:17], -v[140:141]
	v_fma_f64 v[142:143], v[146:147], s[16:17], -v[142:143]
	;; [unrolled: 1-line block ×4, first 2 shown]
	v_fma_f64 v[56:57], v[56:57], s[14:15], v[52:53]
	v_fma_f64 v[58:59], v[58:59], s[14:15], v[54:55]
	v_fma_f64 v[52:53], v[144:145], s[18:19], -v[52:53]
	v_fma_f64 v[54:55], v[146:147], s[18:19], -v[54:55]
	v_add_f64 v[140:141], v[140:141], v[48:49]
	v_add_f64 v[142:143], v[142:143], v[50:51]
	v_fma_f64 v[156:157], v[36:37], s[0:1], v[44:45]
	v_fma_f64 v[44:45], v[38:39], s[0:1], v[46:47]
	v_fma_f64 v[144:145], v[40:41], s[20:21], v[148:149]
	v_fma_f64 v[146:147], v[42:43], s[20:21], v[150:151]
	v_fma_f64 v[40:41], v[40:41], s[22:23], -v[152:153]
	v_fma_f64 v[42:43], v[42:43], s[22:23], -v[154:155]
	v_add_f64 v[148:149], v[56:57], v[48:49]
	v_add_f64 v[150:151], v[58:59], v[50:51]
	;; [unrolled: 1-line block ×4, first 2 shown]
	v_add_f64 v[48:49], v[140:141], -v[44:45]
	v_add_f64 v[50:51], v[156:157], v[142:143]
	v_add_f64 v[44:45], v[140:141], v[44:45]
	v_add_f64 v[46:47], v[142:143], -v[156:157]
	v_add_f64 v[140:141], v[72:73], v[88:89]
	v_add_f64 v[142:143], v[74:75], v[90:91]
	v_add_f64 v[72:73], v[72:73], -v[88:89]
	v_add_f64 v[74:75], v[74:75], -v[90:91]
	v_add_f64 v[88:89], v[68:69], v[84:85]
	v_add_f64 v[90:91], v[70:71], v[86:87]
	v_fma_f64 v[144:145], v[36:37], s[0:1], v[144:145]
	v_fma_f64 v[146:147], v[38:39], s[0:1], v[146:147]
	v_fma_f64 v[36:37], v[36:37], s[0:1], v[40:41]
	v_fma_f64 v[38:39], v[38:39], s[0:1], v[42:43]
	v_add_f64 v[68:69], v[68:69], -v[84:85]
	v_add_f64 v[70:71], v[70:71], -v[86:87]
	v_add_f64 v[84:85], v[76:77], v[80:81]
	v_add_f64 v[86:87], v[78:79], v[82:83]
	v_add_f64 v[76:77], v[80:81], -v[76:77]
	v_add_f64 v[78:79], v[82:83], -v[78:79]
	v_add_f64 v[80:81], v[88:89], v[140:141]
	v_add_f64 v[82:83], v[90:91], v[142:143]
	;; [unrolled: 1-line block ×3, first 2 shown]
	v_add_f64 v[58:59], v[150:151], -v[144:145]
	v_add_f64 v[52:53], v[152:153], v[38:39]
	v_add_f64 v[54:55], v[154:155], -v[36:37]
	v_add_f64 v[40:41], v[152:153], -v[38:39]
	v_add_f64 v[42:43], v[36:37], v[154:155]
	v_add_f64 v[36:37], v[148:149], -v[146:147]
	v_add_f64 v[38:39], v[144:145], v[150:151]
	v_add_f64 v[144:145], v[88:89], -v[140:141]
	v_add_f64 v[146:147], v[90:91], -v[142:143]
	;; [unrolled: 1-line block ×6, first 2 shown]
	v_add_f64 v[148:149], v[76:77], v[68:69]
	v_add_f64 v[150:151], v[78:79], v[70:71]
	v_add_f64 v[152:153], v[76:77], -v[68:69]
	v_add_f64 v[154:155], v[78:79], -v[70:71]
	v_add_f64 v[80:81], v[84:85], v[80:81]
	v_add_f64 v[82:83], v[86:87], v[82:83]
	v_add_f64 v[76:77], v[72:73], -v[76:77]
	v_add_f64 v[78:79], v[74:75], -v[78:79]
	v_add_f64 v[68:69], v[68:69], -v[72:73]
	v_add_f64 v[70:71], v[70:71], -v[74:75]
	v_add_f64 v[72:73], v[148:149], v[72:73]
	v_add_f64 v[74:75], v[150:151], v[74:75]
	;; [unrolled: 1-line block ×4, first 2 shown]
	v_mul_f64 v[84:85], v[140:141], s[28:29]
	v_mul_f64 v[86:87], v[142:143], s[28:29]
	;; [unrolled: 1-line block ×8, first 2 shown]
	v_fma_f64 v[80:81], v[80:81], s[24:25], v[64:65]
	v_fma_f64 v[82:83], v[82:83], s[24:25], v[66:67]
	v_fma_f64 v[140:141], v[144:145], s[16:17], -v[140:141]
	v_fma_f64 v[142:143], v[146:147], s[16:17], -v[142:143]
	;; [unrolled: 1-line block ×4, first 2 shown]
	v_fma_f64 v[88:89], v[88:89], s[14:15], v[84:85]
	v_fma_f64 v[90:91], v[90:91], s[14:15], v[86:87]
	v_fma_f64 v[84:85], v[144:145], s[18:19], -v[84:85]
	v_fma_f64 v[86:87], v[146:147], s[18:19], -v[86:87]
	v_fma_f64 v[144:145], v[76:77], s[20:21], v[148:149]
	v_fma_f64 v[146:147], v[78:79], s[20:21], v[150:151]
	v_fma_f64 v[76:77], v[76:77], s[22:23], -v[152:153]
	v_fma_f64 v[78:79], v[78:79], s[22:23], -v[154:155]
	v_add_f64 v[140:141], v[140:141], v[80:81]
	v_add_f64 v[142:143], v[142:143], v[82:83]
	v_fma_f64 v[68:69], v[72:73], s[0:1], v[68:69]
	v_fma_f64 v[70:71], v[74:75], s[0:1], v[70:71]
	v_add_f64 v[148:149], v[88:89], v[80:81]
	v_add_f64 v[150:151], v[90:91], v[82:83]
	;; [unrolled: 1-line block ×4, first 2 shown]
	v_fma_f64 v[144:145], v[72:73], s[0:1], v[144:145]
	v_fma_f64 v[156:157], v[72:73], s[0:1], v[76:77]
	;; [unrolled: 1-line block ×3, first 2 shown]
	v_add_f64 v[80:81], v[140:141], -v[70:71]
	v_add_f64 v[82:83], v[68:69], v[142:143]
	v_add_f64 v[76:77], v[140:141], v[70:71]
	v_add_f64 v[78:79], v[142:143], -v[68:69]
	s_waitcnt lgkmcnt(7)
	v_add_f64 v[140:141], v[96:97], v[116:117]
	v_add_f64 v[142:143], v[98:99], v[118:119]
	v_add_f64 v[96:97], v[96:97], -v[116:117]
	v_add_f64 v[98:99], v[98:99], -v[118:119]
	v_add_f64 v[116:117], v[108:109], v[112:113]
	v_add_f64 v[118:119], v[110:111], v[114:115]
	v_fma_f64 v[146:147], v[74:75], s[0:1], v[146:147]
	v_add_f64 v[108:109], v[108:109], -v[112:113]
	v_add_f64 v[110:111], v[110:111], -v[114:115]
	v_add_f64 v[112:113], v[100:101], v[104:105]
	v_add_f64 v[114:115], v[102:103], v[106:107]
	v_add_f64 v[100:101], v[104:105], -v[100:101]
	v_add_f64 v[102:103], v[106:107], -v[102:103]
	v_add_f64 v[104:105], v[116:117], v[140:141]
	v_add_f64 v[106:107], v[118:119], v[142:143]
	;; [unrolled: 1-line block ×3, first 2 shown]
	v_add_f64 v[90:91], v[150:151], -v[144:145]
	v_add_f64 v[84:85], v[152:153], v[72:73]
	v_add_f64 v[86:87], v[154:155], -v[156:157]
	v_add_f64 v[72:73], v[152:153], -v[72:73]
	v_add_f64 v[74:75], v[156:157], v[154:155]
	v_add_f64 v[68:69], v[148:149], -v[146:147]
	v_add_f64 v[70:71], v[144:145], v[150:151]
	v_add_f64 v[144:145], v[116:117], -v[140:141]
	v_add_f64 v[146:147], v[118:119], -v[142:143]
	;; [unrolled: 1-line block ×6, first 2 shown]
	v_add_f64 v[148:149], v[100:101], v[108:109]
	v_add_f64 v[150:151], v[102:103], v[110:111]
	v_add_f64 v[152:153], v[100:101], -v[108:109]
	v_add_f64 v[154:155], v[102:103], -v[110:111]
	v_add_f64 v[104:105], v[112:113], v[104:105]
	v_add_f64 v[106:107], v[114:115], v[106:107]
	v_add_f64 v[100:101], v[96:97], -v[100:101]
	v_add_f64 v[102:103], v[98:99], -v[102:103]
	;; [unrolled: 1-line block ×4, first 2 shown]
	v_add_f64 v[96:97], v[148:149], v[96:97]
	v_add_f64 v[98:99], v[150:151], v[98:99]
	;; [unrolled: 1-line block ×4, first 2 shown]
	v_mul_f64 v[112:113], v[140:141], s[28:29]
	v_mul_f64 v[114:115], v[142:143], s[28:29]
	;; [unrolled: 1-line block ×8, first 2 shown]
	v_fma_f64 v[104:105], v[104:105], s[24:25], v[92:93]
	v_fma_f64 v[106:107], v[106:107], s[24:25], v[94:95]
	;; [unrolled: 1-line block ×4, first 2 shown]
	v_fma_f64 v[140:141], v[144:145], s[16:17], -v[140:141]
	v_fma_f64 v[142:143], v[146:147], s[16:17], -v[142:143]
	;; [unrolled: 1-line block ×6, first 2 shown]
	v_fma_f64 v[144:145], v[100:101], s[20:21], v[148:149]
	v_fma_f64 v[146:147], v[102:103], s[20:21], v[150:151]
	v_fma_f64 v[100:101], v[100:101], s[22:23], -v[152:153]
	v_fma_f64 v[102:103], v[102:103], s[22:23], -v[154:155]
	v_add_f64 v[148:149], v[116:117], v[104:105]
	v_add_f64 v[150:151], v[118:119], v[106:107]
	;; [unrolled: 1-line block ×6, first 2 shown]
	v_fma_f64 v[106:107], v[96:97], s[0:1], v[108:109]
	v_fma_f64 v[104:105], v[98:99], s[0:1], v[110:111]
	;; [unrolled: 1-line block ×6, first 2 shown]
	s_waitcnt lgkmcnt(0)
	; wave barrier
	s_waitcnt lgkmcnt(0)
	v_add_f64 v[110:111], v[106:107], v[142:143]
	v_add_f64 v[108:109], v[140:141], -v[104:105]
	v_add_f64 v[104:105], v[140:141], v[104:105]
	v_add_f64 v[106:107], v[142:143], -v[106:107]
	v_add_f64 v[140:141], v[132:133], v[136:137]
	v_add_f64 v[142:143], v[134:135], v[138:139]
	v_add_f64 v[132:133], v[132:133], -v[136:137]
	v_add_f64 v[134:135], v[134:135], -v[138:139]
	v_add_f64 v[136:137], v[124:125], v[128:129]
	v_add_f64 v[138:139], v[126:127], v[130:131]
	v_add_f64 v[128:129], v[124:125], -v[128:129]
	;; [unrolled: 4-line block ×3, first 2 shown]
	v_add_f64 v[62:63], v[122:123], -v[62:63]
	v_add_f64 v[120:121], v[136:137], v[140:141]
	v_add_f64 v[122:123], v[138:139], v[142:143]
	;; [unrolled: 1-line block ×3, first 2 shown]
	v_add_f64 v[118:119], v[150:151], -v[144:145]
	v_add_f64 v[112:113], v[152:153], v[98:99]
	v_add_f64 v[114:115], v[154:155], -v[96:97]
	v_add_f64 v[100:101], v[152:153], -v[98:99]
	v_add_f64 v[102:103], v[96:97], v[154:155]
	v_add_f64 v[96:97], v[148:149], -v[146:147]
	v_add_f64 v[98:99], v[144:145], v[150:151]
	v_add_f64 v[144:145], v[136:137], -v[140:141]
	v_add_f64 v[146:147], v[138:139], -v[142:143]
	;; [unrolled: 1-line block ×6, first 2 shown]
	v_add_f64 v[148:149], v[60:61], v[128:129]
	v_add_f64 v[150:151], v[62:63], v[130:131]
	v_add_f64 v[152:153], v[60:61], -v[128:129]
	v_add_f64 v[154:155], v[62:63], -v[130:131]
	;; [unrolled: 1-line block ×3, first 2 shown]
	v_add_f64 v[126:127], v[126:127], v[120:121]
	v_add_f64 v[124:125], v[124:125], v[122:123]
	v_add_f64 v[128:129], v[128:129], -v[132:133]
	v_add_f64 v[60:61], v[132:133], -v[60:61]
	;; [unrolled: 1-line block ×3, first 2 shown]
	v_add_f64 v[132:133], v[148:149], v[132:133]
	v_add_f64 v[134:135], v[150:151], v[134:135]
	v_mul_f64 v[148:149], v[152:153], s[26:27]
	v_add_f64 v[120:121], v[0:1], v[126:127]
	v_add_f64 v[122:123], v[2:3], v[124:125]
	v_mul_f64 v[0:1], v[140:141], s[28:29]
	v_mul_f64 v[2:3], v[142:143], s[28:29]
	v_mul_f64 v[140:141], v[136:137], s[14:15]
	v_mul_f64 v[142:143], v[138:139], s[14:15]
	v_mul_f64 v[150:151], v[154:155], s[26:27]
	v_mul_f64 v[154:155], v[130:131], s[2:3]
	v_mul_f64 v[152:153], v[128:129], s[2:3]
	v_fma_f64 v[126:127], v[126:127], s[24:25], v[120:121]
	v_fma_f64 v[124:125], v[124:125], s[24:25], v[122:123]
	;; [unrolled: 1-line block ×4, first 2 shown]
	v_fma_f64 v[140:141], v[144:145], s[16:17], -v[140:141]
	v_fma_f64 v[142:143], v[146:147], s[16:17], -v[142:143]
	v_fma_f64 v[0:1], v[144:145], s[18:19], -v[0:1]
	v_fma_f64 v[2:3], v[146:147], s[18:19], -v[2:3]
	v_fma_f64 v[144:145], v[60:61], s[20:21], v[148:149]
	v_fma_f64 v[146:147], v[62:63], s[20:21], v[150:151]
	v_fma_f64 v[62:63], v[62:63], s[22:23], -v[154:155]
	v_fma_f64 v[60:61], v[60:61], s[22:23], -v[152:153]
	;; [unrolled: 1-line block ×4, first 2 shown]
	v_add_f64 v[148:149], v[136:137], v[126:127]
	v_add_f64 v[150:151], v[138:139], v[124:125]
	;; [unrolled: 1-line block ×4, first 2 shown]
	v_fma_f64 v[140:141], v[132:133], s[0:1], v[144:145]
	v_fma_f64 v[62:63], v[134:135], s[0:1], v[62:63]
	v_add_f64 v[138:139], v[142:143], v[124:125]
	v_add_f64 v[2:3], v[2:3], v[124:125]
	v_fma_f64 v[142:143], v[134:135], s[0:1], v[146:147]
	v_fma_f64 v[60:61], v[132:133], s[0:1], v[60:61]
	;; [unrolled: 1-line block ×4, first 2 shown]
	v_add_f64 v[126:127], v[150:151], -v[140:141]
	v_add_f64 v[128:129], v[0:1], v[62:63]
	v_add_f64 v[0:1], v[0:1], -v[62:63]
	v_add_f64 v[62:63], v[140:141], v[150:151]
	v_mul_lo_u16_e32 v140, 7, v176
	v_lshlrev_b32_e32 v140, 4, v140
	v_add_f64 v[130:131], v[2:3], -v[60:61]
	v_add_f64 v[2:3], v[60:61], v[2:3]
	v_add_f64 v[60:61], v[148:149], -v[142:143]
	ds_write_b128 v140, v[4:7]
	ds_write_b128 v140, v[28:31] offset:16
	ds_write_b128 v140, v[24:27] offset:32
	;; [unrolled: 1-line block ×5, first 2 shown]
	v_mul_u32_u24_e32 v4, 7, v196
	v_add_f64 v[124:125], v[148:149], v[142:143]
	v_lshlrev_b32_e32 v4, 4, v4
	buffer_store_dword v140, off, s[44:47], 0 offset:1220 ; 4-byte Folded Spill
	ds_write_b128 v140, v[8:11] offset:96
	ds_write_b128 v4, v[32:35]
	ds_write_b128 v4, v[56:59] offset:16
	ds_write_b128 v4, v[52:55] offset:32
	ds_write_b128 v4, v[48:51] offset:48
	ds_write_b128 v4, v[44:47] offset:64
	ds_write_b128 v4, v[40:43] offset:80
	buffer_store_dword v4, off, s[44:47], 0 offset:1024 ; 4-byte Folded Spill
	ds_write_b128 v4, v[36:39] offset:96
	v_mul_u32_u24_e32 v4, 7, v255
	v_add_f64 v[132:133], v[136:137], -v[146:147]
	v_add_f64 v[134:135], v[144:145], v[138:139]
	v_lshlrev_b32_e32 v4, 4, v4
	v_add_f64 v[136:137], v[136:137], v[146:147]
	v_add_f64 v[138:139], v[138:139], -v[144:145]
	ds_write_b128 v4, v[64:67]
	ds_write_b128 v4, v[88:91] offset:16
	ds_write_b128 v4, v[84:87] offset:32
	;; [unrolled: 1-line block ×5, first 2 shown]
	buffer_store_dword v4, off, s[44:47], 0 offset:972 ; 4-byte Folded Spill
	ds_write_b128 v4, v[68:71] offset:96
	v_mul_u32_u24_e32 v4, 7, v159
	v_lshlrev_b32_e32 v4, 4, v4
	buffer_store_dword v159, off, s[44:47], 0 offset:4 ; 4-byte Folded Spill
	ds_write_b128 v4, v[92:95]
	ds_write_b128 v4, v[116:119] offset:16
	ds_write_b128 v4, v[112:115] offset:32
	;; [unrolled: 1-line block ×5, first 2 shown]
	buffer_store_dword v4, off, s[44:47], 0 offset:856 ; 4-byte Folded Spill
	ds_write_b128 v4, v[96:99] offset:96
	v_mul_u32_u24_e32 v4, 7, v158
	v_lshlrev_b32_e32 v4, 4, v4
	buffer_store_dword v158, off, s[44:47], 0 offset:1624 ; 4-byte Folded Spill
	ds_write_b128 v4, v[120:123]
	ds_write_b128 v4, v[124:127] offset:16
	ds_write_b128 v4, v[128:131] offset:32
	;; [unrolled: 1-line block ×5, first 2 shown]
	buffer_store_dword v4, off, s[44:47], 0 offset:740 ; 4-byte Folded Spill
	ds_write_b128 v4, v[60:63] offset:96
	s_waitcnt lgkmcnt(0)
	; wave barrier
	s_waitcnt lgkmcnt(0)
	ds_read_b128 v[12:15], v254
	ds_read_b128 v[172:175], v254 offset:2800
	ds_read_b128 v[168:171], v254 offset:5600
	;; [unrolled: 1-line block ×32, first 2 shown]
	v_cmp_gt_u16_e64 s[0:1], 10, v176
	buffer_store_dword v176, off, s[44:47], 0 ; 4-byte Folded Spill
                                        ; implicit-def: $vgpr40_vgpr41
                                        ; implicit-def: $vgpr48_vgpr49
                                        ; implicit-def: $vgpr56_vgpr57
                                        ; implicit-def: $vgpr4_vgpr5
                                        ; implicit-def: $vgpr20_vgpr21
                                        ; implicit-def: $vgpr32_vgpr33
                                        ; implicit-def: $vgpr44_vgpr45
                                        ; implicit-def: $vgpr28_vgpr29
                                        ; implicit-def: $vgpr36_vgpr37
	s_and_saveexec_b64 s[2:3], s[0:1]
	s_cbranch_execz .LBB0_3
; %bb.2:
	ds_read_b128 v[0:3], v254 offset:2640
	ds_read_b128 v[60:63], v254 offset:5440
	;; [unrolled: 1-line block ×11, first 2 shown]
.LBB0_3:
	s_or_b64 exec, exec, s[2:3]
	buffer_load_dword v179, off, s[44:47], 0 ; 4-byte Folded Reload
	v_mov_b32_e32 v176, 37
	s_mov_b32 s26, 0xf8bb580b
	s_mov_b32 s38, 0x8eee2c13
	;; [unrolled: 1-line block ×28, first 2 shown]
	s_waitcnt vmcnt(0)
	v_mul_lo_u16_sdwa v177, v179, v176 dst_sel:DWORD dst_unused:UNUSED_PAD src0_sel:BYTE_0 src1_sel:DWORD
	v_sub_u16_sdwa v178, v179, v177 dst_sel:DWORD dst_unused:UNUSED_PAD src0_sel:DWORD src1_sel:BYTE_1
	v_lshrrev_b16_e32 v178, 1, v178
	v_and_b32_e32 v178, 0x7f, v178
	v_add_u16_sdwa v177, v178, v177 dst_sel:DWORD dst_unused:UNUSED_PAD src0_sel:DWORD src1_sel:BYTE_1
	v_lshrrev_b16_e32 v177, 2, v177
	buffer_store_dword v177, off, s[44:47], 0 offset:1240 ; 4-byte Folded Spill
	v_mul_lo_u16_e32 v177, 7, v177
	v_sub_u16_e32 v177, v179, v177
	v_and_b32_e32 v177, 0xff, v177
	buffer_store_dword v177, off, s[44:47], 0 offset:1256 ; 4-byte Folded Spill
	v_mul_u32_u24_e32 v177, 10, v177
	v_lshlrev_b32_e32 v179, 4, v177
	global_load_dwordx4 v[180:183], v179, s[10:11] offset:48
	global_load_dwordx4 v[184:187], v179, s[10:11] offset:32
	;; [unrolled: 1-line block ×3, first 2 shown]
	global_load_dwordx4 v[192:195], v179, s[10:11]
	s_waitcnt vmcnt(0) lgkmcnt(14)
	v_mul_f64 v[177:178], v[174:175], v[194:195]
	v_fma_f64 v[248:249], v[172:173], v[192:193], -v[177:178]
	v_mul_f64 v[172:173], v[172:173], v[194:195]
	buffer_store_dword v192, off, s[44:47], 0 offset:840 ; 4-byte Folded Spill
	s_nop 0
	buffer_store_dword v193, off, s[44:47], 0 offset:844 ; 4-byte Folded Spill
	buffer_store_dword v194, off, s[44:47], 0 offset:848 ; 4-byte Folded Spill
	buffer_store_dword v195, off, s[44:47], 0 offset:852 ; 4-byte Folded Spill
	v_fma_f64 v[246:247], v[174:175], v[192:193], v[172:173]
	v_mul_f64 v[172:173], v[170:171], v[190:191]
	v_fma_f64 v[238:239], v[168:169], v[188:189], -v[172:173]
	v_mul_f64 v[168:169], v[168:169], v[190:191]
	buffer_store_dword v188, off, s[44:47], 0 offset:824 ; 4-byte Folded Spill
	s_nop 0
	buffer_store_dword v189, off, s[44:47], 0 offset:828 ; 4-byte Folded Spill
	buffer_store_dword v190, off, s[44:47], 0 offset:832 ; 4-byte Folded Spill
	buffer_store_dword v191, off, s[44:47], 0 offset:836 ; 4-byte Folded Spill
	v_fma_f64 v[236:237], v[170:171], v[188:189], v[168:169]
	;; [unrolled: 9-line block ×4, first 2 shown]
	global_load_dwordx4 v[162:165], v179, s[10:11] offset:112
	global_load_dwordx4 v[166:169], v179, s[10:11] offset:96
	;; [unrolled: 1-line block ×4, first 2 shown]
	s_waitcnt vmcnt(0)
	v_mul_f64 v[160:161], v[158:159], v[182:183]
	v_fma_f64 v[220:221], v[156:157], v[180:181], -v[160:161]
	v_mul_f64 v[156:157], v[156:157], v[182:183]
	buffer_store_dword v180, off, s[44:47], 0 offset:876 ; 4-byte Folded Spill
	s_nop 0
	buffer_store_dword v181, off, s[44:47], 0 offset:880 ; 4-byte Folded Spill
	buffer_store_dword v182, off, s[44:47], 0 offset:884 ; 4-byte Folded Spill
	buffer_store_dword v183, off, s[44:47], 0 offset:888 ; 4-byte Folded Spill
	v_fma_f64 v[214:215], v[158:159], v[180:181], v[156:157]
	v_mul_f64 v[156:157], v[154:155], v[172:173]
	v_fma_f64 v[222:223], v[152:153], v[170:171], -v[156:157]
	v_mul_f64 v[152:153], v[152:153], v[172:173]
	buffer_store_dword v170, off, s[44:47], 0 offset:808 ; 4-byte Folded Spill
	s_nop 0
	buffer_store_dword v171, off, s[44:47], 0 offset:812 ; 4-byte Folded Spill
	buffer_store_dword v172, off, s[44:47], 0 offset:816 ; 4-byte Folded Spill
	buffer_store_dword v173, off, s[44:47], 0 offset:820 ; 4-byte Folded Spill
	v_fma_f64 v[216:217], v[154:155], v[170:171], v[152:153]
	;; [unrolled: 9-line block ×4, first 2 shown]
	global_load_dwordx4 v[146:149], v179, s[10:11] offset:144
	global_load_dwordx4 v[150:153], v179, s[10:11] offset:128
	s_waitcnt vmcnt(0)
	v_mul_f64 v[144:145], v[142:143], v[152:153]
	v_fma_f64 v[244:245], v[140:141], v[150:151], -v[144:145]
	v_mul_f64 v[140:141], v[140:141], v[152:153]
	buffer_store_dword v150, off, s[44:47], 0 offset:892 ; 4-byte Folded Spill
	s_nop 0
	buffer_store_dword v151, off, s[44:47], 0 offset:896 ; 4-byte Folded Spill
	buffer_store_dword v152, off, s[44:47], 0 offset:900 ; 4-byte Folded Spill
	buffer_store_dword v153, off, s[44:47], 0 offset:904 ; 4-byte Folded Spill
	v_fma_f64 v[242:243], v[142:143], v[150:151], v[140:141]
	v_mul_f64 v[140:141], v[138:139], v[148:149]
	v_fma_f64 v[252:253], v[136:137], v[146:147], -v[140:141]
	v_mul_f64 v[136:137], v[136:137], v[148:149]
	buffer_store_dword v146, off, s[44:47], 0 offset:860 ; 4-byte Folded Spill
	s_nop 0
	buffer_store_dword v147, off, s[44:47], 0 offset:864 ; 4-byte Folded Spill
	buffer_store_dword v148, off, s[44:47], 0 offset:868 ; 4-byte Folded Spill
	;; [unrolled: 1-line block ×4, first 2 shown]
	v_fma_f64 v[250:251], v[138:139], v[146:147], v[136:137]
	v_mul_lo_u16_sdwa v136, v196, v176 dst_sel:DWORD dst_unused:UNUSED_PAD src0_sel:BYTE_0 src1_sel:DWORD
	v_sub_u16_sdwa v137, v196, v136 dst_sel:DWORD dst_unused:UNUSED_PAD src0_sel:DWORD src1_sel:BYTE_1
	v_lshrrev_b16_e32 v137, 1, v137
	v_and_b32_e32 v137, 0x7f, v137
	v_add_u16_sdwa v136, v137, v136 dst_sel:DWORD dst_unused:UNUSED_PAD src0_sel:DWORD src1_sel:BYTE_1
	v_lshrrev_b16_e32 v136, 2, v136
	buffer_store_dword v136, off, s[44:47], 0 offset:1272 ; 4-byte Folded Spill
	v_mul_lo_u16_e32 v136, 7, v136
	v_sub_u16_e32 v136, v196, v136
	v_and_b32_e32 v136, 0xff, v136
	buffer_store_dword v136, off, s[44:47], 0 offset:1288 ; 4-byte Folded Spill
	v_mul_u32_u24_e32 v136, 10, v136
	v_lshlrev_b32_e32 v138, 4, v136
	global_load_dwordx4 v[139:142], v138, s[10:11] offset:48
	global_load_dwordx4 v[143:146], v138, s[10:11] offset:32
	;; [unrolled: 1-line block ×3, first 2 shown]
	global_load_dwordx4 v[151:154], v138, s[10:11]
	s_waitcnt vmcnt(0)
	v_mul_f64 v[136:137], v[134:135], v[153:154]
	v_fma_f64 v[212:213], v[132:133], v[151:152], -v[136:137]
	v_mul_f64 v[132:133], v[132:133], v[153:154]
	buffer_store_dword v151, off, s[44:47], 0 offset:976 ; 4-byte Folded Spill
	s_nop 0
	buffer_store_dword v152, off, s[44:47], 0 offset:980 ; 4-byte Folded Spill
	buffer_store_dword v153, off, s[44:47], 0 offset:984 ; 4-byte Folded Spill
	buffer_store_dword v154, off, s[44:47], 0 offset:988 ; 4-byte Folded Spill
	v_fma_f64 v[210:211], v[134:135], v[151:152], v[132:133]
	v_mul_f64 v[132:133], v[130:131], v[149:150]
	v_fma_f64 v[208:209], v[128:129], v[147:148], -v[132:133]
	v_mul_f64 v[128:129], v[128:129], v[149:150]
	buffer_store_dword v147, off, s[44:47], 0 offset:940 ; 4-byte Folded Spill
	s_nop 0
	buffer_store_dword v148, off, s[44:47], 0 offset:944 ; 4-byte Folded Spill
	buffer_store_dword v149, off, s[44:47], 0 offset:948 ; 4-byte Folded Spill
	buffer_store_dword v150, off, s[44:47], 0 offset:952 ; 4-byte Folded Spill
	v_fma_f64 v[206:207], v[130:131], v[147:148], v[128:129]
	;; [unrolled: 9-line block ×4, first 2 shown]
	global_load_dwordx4 v[122:125], v138, s[10:11] offset:112
	global_load_dwordx4 v[126:129], v138, s[10:11] offset:96
	;; [unrolled: 1-line block ×4, first 2 shown]
	s_waitcnt vmcnt(0)
	v_mul_f64 v[120:121], v[118:119], v[136:137]
	v_fma_f64 v[198:199], v[116:117], v[134:135], -v[120:121]
	v_mul_f64 v[116:117], v[116:117], v[136:137]
	buffer_store_dword v134, off, s[44:47], 0 offset:1028 ; 4-byte Folded Spill
	s_nop 0
	buffer_store_dword v135, off, s[44:47], 0 offset:1032 ; 4-byte Folded Spill
	buffer_store_dword v136, off, s[44:47], 0 offset:1036 ; 4-byte Folded Spill
	buffer_store_dword v137, off, s[44:47], 0 offset:1040 ; 4-byte Folded Spill
	v_fma_f64 v[116:117], v[118:119], v[134:135], v[116:117]
	v_mul_f64 v[118:119], v[114:115], v[132:133]
	v_fma_f64 v[118:119], v[112:113], v[130:131], -v[118:119]
	v_mul_f64 v[112:113], v[112:113], v[132:133]
	buffer_store_dword v130, off, s[44:47], 0 offset:1008 ; 4-byte Folded Spill
	s_nop 0
	buffer_store_dword v131, off, s[44:47], 0 offset:1012 ; 4-byte Folded Spill
	buffer_store_dword v132, off, s[44:47], 0 offset:1016 ; 4-byte Folded Spill
	buffer_store_dword v133, off, s[44:47], 0 offset:1020 ; 4-byte Folded Spill
	v_fma_f64 v[112:113], v[114:115], v[130:131], v[112:113]
	;; [unrolled: 9-line block ×3, first 2 shown]
	s_waitcnt lgkmcnt(13)
	v_mul_f64 v[110:111], v[106:107], v[124:125]
	v_fma_f64 v[110:111], v[104:105], v[122:123], -v[110:111]
	v_mul_f64 v[104:105], v[104:105], v[124:125]
	buffer_store_dword v122, off, s[44:47], 0 offset:956 ; 4-byte Folded Spill
	s_nop 0
	buffer_store_dword v123, off, s[44:47], 0 offset:960 ; 4-byte Folded Spill
	buffer_store_dword v124, off, s[44:47], 0 offset:964 ; 4-byte Folded Spill
	;; [unrolled: 1-line block ×3, first 2 shown]
	v_fma_f64 v[104:105], v[106:107], v[122:123], v[104:105]
	global_load_dwordx4 v[120:123], v138, s[10:11] offset:144
	global_load_dwordx4 v[124:127], v138, s[10:11] offset:128
	s_waitcnt vmcnt(0) lgkmcnt(12)
	v_mul_f64 v[106:107], v[102:103], v[126:127]
	v_fma_f64 v[106:107], v[100:101], v[124:125], -v[106:107]
	v_mul_f64 v[100:101], v[100:101], v[126:127]
	buffer_store_dword v124, off, s[44:47], 0 offset:1060 ; 4-byte Folded Spill
	s_nop 0
	buffer_store_dword v125, off, s[44:47], 0 offset:1064 ; 4-byte Folded Spill
	buffer_store_dword v126, off, s[44:47], 0 offset:1068 ; 4-byte Folded Spill
	;; [unrolled: 1-line block ×3, first 2 shown]
	v_fma_f64 v[100:101], v[102:103], v[124:125], v[100:101]
	s_waitcnt lgkmcnt(11)
	v_mul_f64 v[102:103], v[98:99], v[122:123]
	v_fma_f64 v[102:103], v[96:97], v[120:121], -v[102:103]
	v_mul_f64 v[96:97], v[96:97], v[122:123]
	buffer_store_dword v120, off, s[44:47], 0 offset:1044 ; 4-byte Folded Spill
	s_nop 0
	buffer_store_dword v121, off, s[44:47], 0 offset:1048 ; 4-byte Folded Spill
	buffer_store_dword v122, off, s[44:47], 0 offset:1052 ; 4-byte Folded Spill
	;; [unrolled: 1-line block ×4, first 2 shown]
	v_fma_f64 v[96:97], v[98:99], v[120:121], v[96:97]
	v_mul_lo_u16_sdwa v98, v255, v176 dst_sel:DWORD dst_unused:UNUSED_PAD src0_sel:BYTE_0 src1_sel:DWORD
	v_sub_u16_sdwa v99, v255, v98 dst_sel:DWORD dst_unused:UNUSED_PAD src0_sel:DWORD src1_sel:BYTE_1
	v_lshrrev_b16_e32 v99, 1, v99
	v_and_b32_e32 v99, 0x7f, v99
	v_add_u16_sdwa v98, v99, v98 dst_sel:DWORD dst_unused:UNUSED_PAD src0_sel:DWORD src1_sel:BYTE_1
	v_lshrrev_b16_e32 v98, 2, v98
	buffer_store_dword v98, off, s[44:47], 0 offset:1320 ; 4-byte Folded Spill
	v_mul_lo_u16_e32 v98, 7, v98
	v_sub_u16_e32 v98, v255, v98
	v_and_b32_e32 v255, 0xff, v98
	v_mul_u32_u24_e32 v98, 10, v255
	v_lshlrev_b32_e32 v138, 4, v98
	global_load_dwordx4 v[120:123], v138, s[10:11] offset:48
	global_load_dwordx4 v[124:127], v138, s[10:11] offset:32
	;; [unrolled: 1-line block ×3, first 2 shown]
	global_load_dwordx4 v[132:135], v138, s[10:11]
	s_waitcnt vmcnt(0) lgkmcnt(9)
	v_mul_f64 v[98:99], v[94:95], v[134:135]
	v_fma_f64 v[192:193], v[92:93], v[132:133], -v[98:99]
	v_mul_f64 v[92:93], v[92:93], v[134:135]
	buffer_store_dword v132, off, s[44:47], 0 offset:1124 ; 4-byte Folded Spill
	s_nop 0
	buffer_store_dword v133, off, s[44:47], 0 offset:1128 ; 4-byte Folded Spill
	buffer_store_dword v134, off, s[44:47], 0 offset:1132 ; 4-byte Folded Spill
	buffer_store_dword v135, off, s[44:47], 0 offset:1136 ; 4-byte Folded Spill
	v_fma_f64 v[190:191], v[94:95], v[132:133], v[92:93]
	s_waitcnt lgkmcnt(8)
	v_mul_f64 v[92:93], v[90:91], v[130:131]
	v_fma_f64 v[184:185], v[88:89], v[128:129], -v[92:93]
	v_mul_f64 v[88:89], v[88:89], v[130:131]
	buffer_store_dword v128, off, s[44:47], 0 offset:1108 ; 4-byte Folded Spill
	s_nop 0
	buffer_store_dword v129, off, s[44:47], 0 offset:1112 ; 4-byte Folded Spill
	buffer_store_dword v130, off, s[44:47], 0 offset:1116 ; 4-byte Folded Spill
	buffer_store_dword v131, off, s[44:47], 0 offset:1120 ; 4-byte Folded Spill
	v_fma_f64 v[182:183], v[90:91], v[128:129], v[88:89]
	s_waitcnt lgkmcnt(7)
	;; [unrolled: 10-line block ×3, first 2 shown]
	v_mul_f64 v[84:85], v[78:79], v[122:123]
	v_fma_f64 v[132:133], v[76:77], v[120:121], -v[84:85]
	v_mul_f64 v[76:77], v[76:77], v[122:123]
	buffer_store_dword v120, off, s[44:47], 0 offset:1076 ; 4-byte Folded Spill
	s_nop 0
	buffer_store_dword v121, off, s[44:47], 0 offset:1080 ; 4-byte Folded Spill
	buffer_store_dword v122, off, s[44:47], 0 offset:1084 ; 4-byte Folded Spill
	;; [unrolled: 1-line block ×3, first 2 shown]
	v_fma_f64 v[128:129], v[78:79], v[120:121], v[76:77]
	global_load_dwordx4 v[84:87], v138, s[10:11] offset:112
	global_load_dwordx4 v[88:91], v138, s[10:11] offset:96
	;; [unrolled: 1-line block ×4, first 2 shown]
	s_waitcnt vmcnt(0) lgkmcnt(5)
	v_mul_f64 v[76:77], v[74:75], v[122:123]
	v_fma_f64 v[124:125], v[72:73], v[120:121], -v[76:77]
	v_mul_f64 v[72:73], v[72:73], v[122:123]
	buffer_store_dword v120, off, s[44:47], 0 offset:1188 ; 4-byte Folded Spill
	s_nop 0
	buffer_store_dword v121, off, s[44:47], 0 offset:1192 ; 4-byte Folded Spill
	buffer_store_dword v122, off, s[44:47], 0 offset:1196 ; 4-byte Folded Spill
	;; [unrolled: 1-line block ×3, first 2 shown]
	v_fma_f64 v[120:121], v[74:75], v[120:121], v[72:73]
	s_waitcnt lgkmcnt(4)
	v_mul_f64 v[72:73], v[70:71], v[94:95]
	v_fma_f64 v[126:127], v[68:69], v[92:93], -v[72:73]
	v_mul_f64 v[68:69], v[68:69], v[94:95]
	buffer_store_dword v92, off, s[44:47], 0 offset:1172 ; 4-byte Folded Spill
	s_nop 0
	buffer_store_dword v93, off, s[44:47], 0 offset:1176 ; 4-byte Folded Spill
	buffer_store_dword v94, off, s[44:47], 0 offset:1180 ; 4-byte Folded Spill
	;; [unrolled: 1-line block ×3, first 2 shown]
	v_add_f64 v[94:95], v[214:215], -v[216:217]
	v_fma_f64 v[122:123], v[70:71], v[92:93], v[68:69]
	s_waitcnt lgkmcnt(3)
	v_mul_f64 v[68:69], v[66:67], v[90:91]
	v_add_f64 v[92:93], v[220:221], -v[222:223]
	v_fma_f64 v[136:137], v[64:65], v[88:89], -v[68:69]
	v_mul_f64 v[64:65], v[64:65], v[90:91]
	buffer_store_dword v88, off, s[44:47], 0 offset:1156 ; 4-byte Folded Spill
	s_nop 0
	buffer_store_dword v89, off, s[44:47], 0 offset:1160 ; 4-byte Folded Spill
	buffer_store_dword v90, off, s[44:47], 0 offset:1164 ; 4-byte Folded Spill
	;; [unrolled: 1-line block ×3, first 2 shown]
	v_add_f64 v[90:91], v[214:215], v[216:217]
	v_fma_f64 v[130:131], v[66:67], v[88:89], v[64:65]
	s_waitcnt lgkmcnt(2)
	v_mul_f64 v[64:65], v[54:55], v[86:87]
	v_add_f64 v[88:89], v[220:221], v[222:223]
	v_fma_f64 v[186:187], v[52:53], v[84:85], -v[64:65]
	v_mul_f64 v[52:53], v[52:53], v[86:87]
	buffer_store_dword v84, off, s[44:47], 0 offset:1140 ; 4-byte Folded Spill
	s_nop 0
	buffer_store_dword v85, off, s[44:47], 0 offset:1144 ; 4-byte Folded Spill
	buffer_store_dword v86, off, s[44:47], 0 offset:1148 ; 4-byte Folded Spill
	;; [unrolled: 1-line block ×3, first 2 shown]
	global_load_dwordx4 v[64:67], v138, s[10:11] offset:144
	global_load_dwordx4 v[68:71], v138, s[10:11] offset:128
	v_fma_f64 v[178:179], v[54:55], v[84:85], v[52:53]
	s_waitcnt vmcnt(0) lgkmcnt(1)
	v_mul_f64 v[52:53], v[26:27], v[70:71]
	v_fma_f64 v[188:189], v[24:25], v[68:69], -v[52:53]
	v_mul_f64 v[24:25], v[24:25], v[70:71]
	buffer_store_dword v68, off, s[44:47], 0 offset:1224 ; 4-byte Folded Spill
	s_nop 0
	buffer_store_dword v69, off, s[44:47], 0 offset:1228 ; 4-byte Folded Spill
	buffer_store_dword v70, off, s[44:47], 0 offset:1232 ; 4-byte Folded Spill
	;; [unrolled: 1-line block ×3, first 2 shown]
	v_fma_f64 v[24:25], v[26:27], v[68:69], v[24:25]
	s_waitcnt lgkmcnt(0)
	v_mul_f64 v[26:27], v[18:19], v[66:67]
	v_fma_f64 v[194:195], v[16:17], v[64:65], -v[26:27]
	v_mul_f64 v[16:17], v[16:17], v[66:67]
	buffer_store_dword v64, off, s[44:47], 0 offset:1204 ; 4-byte Folded Spill
	s_nop 0
	buffer_store_dword v65, off, s[44:47], 0 offset:1208 ; 4-byte Folded Spill
	buffer_store_dword v66, off, s[44:47], 0 offset:1212 ; 4-byte Folded Spill
	;; [unrolled: 1-line block ×3, first 2 shown]
	v_fma_f64 v[26:27], v[18:19], v[64:65], v[16:17]
	buffer_load_dword v18, off, s[44:47], 0 offset:4 ; 4-byte Folded Reload
	s_waitcnt vmcnt(0)
	v_mul_lo_u16_sdwa v16, v18, v176 dst_sel:DWORD dst_unused:UNUSED_PAD src0_sel:BYTE_0 src1_sel:DWORD
	v_sub_u16_sdwa v17, v18, v16 dst_sel:DWORD dst_unused:UNUSED_PAD src0_sel:DWORD src1_sel:BYTE_1
	v_lshrrev_b16_e32 v17, 1, v17
	v_and_b32_e32 v17, 0x7f, v17
	v_add_u16_sdwa v16, v17, v16 dst_sel:DWORD dst_unused:UNUSED_PAD src0_sel:DWORD src1_sel:BYTE_1
	v_lshrrev_b16_e32 v16, 2, v16
	buffer_store_dword v16, off, s[44:47], 0 offset:732 ; 4-byte Folded Spill
	v_mul_lo_u16_e32 v16, 7, v16
	v_sub_u16_e32 v16, v18, v16
	v_and_b32_e32 v16, 0xff, v16
	buffer_store_dword v16, off, s[44:47], 0 offset:736 ; 4-byte Folded Spill
	v_mul_u32_u24_e32 v16, 10, v16
	v_lshlrev_b32_e32 v18, 4, v16
	global_load_dwordx4 v[72:75], v18, s[10:11] offset:48
	global_load_dwordx4 v[68:71], v18, s[10:11] offset:32
	;; [unrolled: 1-line block ×3, first 2 shown]
	global_load_dwordx4 v[52:55], v18, s[10:11]
	s_waitcnt vmcnt(0)
	v_mul_f64 v[16:17], v[62:63], v[54:55]
	v_fma_f64 v[138:139], v[60:61], v[52:53], -v[16:17]
	v_mul_f64 v[16:17], v[60:61], v[54:55]
	buffer_store_dword v52, off, s[44:47], 0 offset:1916 ; 4-byte Folded Spill
	s_nop 0
	buffer_store_dword v53, off, s[44:47], 0 offset:1920 ; 4-byte Folded Spill
	buffer_store_dword v54, off, s[44:47], 0 offset:1924 ; 4-byte Folded Spill
	;; [unrolled: 1-line block ×3, first 2 shown]
	v_mov_b32_e32 v141, v139
	v_mov_b32_e32 v140, v138
	v_fma_f64 v[142:143], v[62:63], v[52:53], v[16:17]
	v_mul_f64 v[16:17], v[42:43], v[66:67]
	v_mov_b32_e32 v157, v143
	v_fma_f64 v[144:145], v[40:41], v[64:65], -v[16:17]
	v_mul_f64 v[16:17], v[40:41], v[66:67]
	buffer_store_dword v64, off, s[44:47], 0 offset:1932 ; 4-byte Folded Spill
	s_nop 0
	buffer_store_dword v65, off, s[44:47], 0 offset:1936 ; 4-byte Folded Spill
	buffer_store_dword v66, off, s[44:47], 0 offset:1940 ; 4-byte Folded Spill
	;; [unrolled: 1-line block ×3, first 2 shown]
	v_mov_b32_e32 v156, v142
	v_fma_f64 v[146:147], v[42:43], v[64:65], v[16:17]
	v_mul_f64 v[16:17], v[50:51], v[70:71]
	v_fma_f64 v[16:17], v[48:49], v[68:69], -v[16:17]
	buffer_store_dword v16, off, s[44:47], 0 offset:1384 ; 4-byte Folded Spill
	s_nop 0
	buffer_store_dword v17, off, s[44:47], 0 offset:1388 ; 4-byte Folded Spill
	v_mul_f64 v[16:17], v[48:49], v[70:71]
	buffer_store_dword v68, off, s[44:47], 0 offset:1948 ; 4-byte Folded Spill
	s_nop 0
	buffer_store_dword v69, off, s[44:47], 0 offset:1952 ; 4-byte Folded Spill
	buffer_store_dword v70, off, s[44:47], 0 offset:1956 ; 4-byte Folded Spill
	;; [unrolled: 1-line block ×3, first 2 shown]
	v_fma_f64 v[148:149], v[50:51], v[68:69], v[16:17]
	v_mul_f64 v[16:17], v[58:59], v[74:75]
	v_fma_f64 v[150:151], v[56:57], v[72:73], -v[16:17]
	v_mul_f64 v[16:17], v[56:57], v[74:75]
	buffer_store_dword v72, off, s[44:47], 0 offset:1980 ; 4-byte Folded Spill
	s_nop 0
	buffer_store_dword v73, off, s[44:47], 0 offset:1984 ; 4-byte Folded Spill
	buffer_store_dword v74, off, s[44:47], 0 offset:1988 ; 4-byte Folded Spill
	;; [unrolled: 1-line block ×3, first 2 shown]
	v_fma_f64 v[154:155], v[58:59], v[72:73], v[16:17]
	global_load_dwordx4 v[40:43], v18, s[10:11] offset:112
	global_load_dwordx4 v[48:51], v18, s[10:11] offset:96
	;; [unrolled: 1-line block ×4, first 2 shown]
	s_waitcnt vmcnt(0)
	v_mul_f64 v[16:17], v[6:7], v[58:59]
	v_fma_f64 v[172:173], v[4:5], v[56:57], -v[16:17]
	v_mul_f64 v[4:5], v[4:5], v[58:59]
	buffer_store_dword v56, off, s[44:47], 0 offset:2060 ; 4-byte Folded Spill
	s_nop 0
	buffer_store_dword v57, off, s[44:47], 0 offset:2064 ; 4-byte Folded Spill
	buffer_store_dword v58, off, s[44:47], 0 offset:2068 ; 4-byte Folded Spill
	;; [unrolled: 1-line block ×3, first 2 shown]
	v_add_f64 v[16:17], v[248:249], v[252:253]
	v_fma_f64 v[170:171], v[6:7], v[56:57], v[4:5]
	v_mul_f64 v[4:5], v[22:23], v[54:55]
	v_add_f64 v[6:7], v[14:15], v[246:247]
	v_fma_f64 v[4:5], v[20:21], v[52:53], -v[4:5]
	buffer_store_dword v4, off, s[44:47], 0 offset:1352 ; 4-byte Folded Spill
	s_nop 0
	buffer_store_dword v5, off, s[44:47], 0 offset:1356 ; 4-byte Folded Spill
	v_mul_f64 v[4:5], v[20:21], v[54:55]
	buffer_store_dword v52, off, s[44:47], 0 offset:2044 ; 4-byte Folded Spill
	s_nop 0
	buffer_store_dword v53, off, s[44:47], 0 offset:2048 ; 4-byte Folded Spill
	buffer_store_dword v54, off, s[44:47], 0 offset:2052 ; 4-byte Folded Spill
	;; [unrolled: 1-line block ×3, first 2 shown]
	v_add_f64 v[6:7], v[6:7], v[236:237]
	v_add_f64 v[6:7], v[6:7], v[228:229]
	;; [unrolled: 1-line block ×9, first 2 shown]
	v_fma_f64 v[174:175], v[22:23], v[52:53], v[4:5]
	v_mul_f64 v[4:5], v[34:35], v[50:51]
	v_fma_f64 v[164:165], v[32:33], v[48:49], -v[4:5]
	v_mul_f64 v[4:5], v[32:33], v[50:51]
	buffer_store_dword v48, off, s[44:47], 0 offset:2012 ; 4-byte Folded Spill
	s_nop 0
	buffer_store_dword v49, off, s[44:47], 0 offset:2016 ; 4-byte Folded Spill
	buffer_store_dword v50, off, s[44:47], 0 offset:2020 ; 4-byte Folded Spill
	;; [unrolled: 1-line block ×3, first 2 shown]
	v_fma_f64 v[4:5], v[34:35], v[48:49], v[4:5]
	buffer_store_dword v4, off, s[44:47], 0 offset:1368 ; 4-byte Folded Spill
	s_nop 0
	buffer_store_dword v5, off, s[44:47], 0 offset:1372 ; 4-byte Folded Spill
	v_mul_f64 v[4:5], v[46:47], v[42:43]
	v_fma_f64 v[4:5], v[44:45], v[40:41], -v[4:5]
	buffer_store_dword v4, off, s[44:47], 0 offset:1400 ; 4-byte Folded Spill
	s_nop 0
	buffer_store_dword v5, off, s[44:47], 0 offset:1404 ; 4-byte Folded Spill
	v_mul_f64 v[4:5], v[44:45], v[42:43]
	buffer_store_dword v40, off, s[44:47], 0 offset:1996 ; 4-byte Folded Spill
	s_nop 0
	buffer_store_dword v41, off, s[44:47], 0 offset:2000 ; 4-byte Folded Spill
	buffer_store_dword v42, off, s[44:47], 0 offset:2004 ; 4-byte Folded Spill
	;; [unrolled: 1-line block ×3, first 2 shown]
	global_load_dwordx4 v[19:22], v18, s[10:11] offset:144
	global_load_dwordx4 v[32:35], v18, s[10:11] offset:128
	v_fma_f64 v[168:169], v[46:47], v[40:41], v[4:5]
	s_waitcnt vmcnt(0)
	v_mul_f64 v[4:5], v[30:31], v[34:35]
	v_fma_f64 v[166:167], v[28:29], v[32:33], -v[4:5]
	v_mul_f64 v[4:5], v[28:29], v[34:35]
	buffer_store_dword v32, off, s[44:47], 0 offset:2028 ; 4-byte Folded Spill
	s_nop 0
	buffer_store_dword v33, off, s[44:47], 0 offset:2032 ; 4-byte Folded Spill
	buffer_store_dword v34, off, s[44:47], 0 offset:2036 ; 4-byte Folded Spill
	;; [unrolled: 1-line block ×3, first 2 shown]
	v_fma_f64 v[78:79], v[30:31], v[32:33], v[4:5]
	v_mul_f64 v[4:5], v[38:39], v[21:22]
	v_fma_f64 v[152:153], v[36:37], v[19:20], -v[4:5]
	v_mul_f64 v[4:5], v[36:37], v[21:22]
	buffer_store_dword v19, off, s[44:47], 0 offset:1964 ; 4-byte Folded Spill
	s_nop 0
	buffer_store_dword v20, off, s[44:47], 0 offset:1968 ; 4-byte Folded Spill
	buffer_store_dword v21, off, s[44:47], 0 offset:1972 ; 4-byte Folded Spill
	;; [unrolled: 1-line block ×3, first 2 shown]
	v_add_f64 v[22:23], v[246:247], -v[250:251]
	v_mov_b32_e32 v159, v153
	v_mov_b32_e32 v158, v152
	v_mul_f64 v[28:29], v[22:23], s[26:27]
	v_mul_f64 v[36:37], v[22:23], s[38:39]
	;; [unrolled: 1-line block ×5, first 2 shown]
	v_fma_f64 v[30:31], v[16:17], s[2:3], -v[28:29]
	v_fma_f64 v[28:29], v[16:17], s[2:3], v[28:29]
	v_fma_f64 v[46:47], v[16:17], s[16:17], -v[44:45]
	v_fma_f64 v[44:45], v[16:17], s[16:17], v[44:45]
	;; [unrolled: 2-line block ×3, first 2 shown]
	v_fma_f64 v[60:61], v[16:17], s[20:21], -v[22:23]
	v_add_f64 v[30:31], v[12:13], v[30:31]
	v_add_f64 v[28:29], v[12:13], v[28:29]
	;; [unrolled: 1-line block ×7, first 2 shown]
	v_fma_f64 v[160:161], v[38:39], v[19:20], v[4:5]
	v_add_f64 v[20:21], v[248:249], -v[252:253]
	v_add_f64 v[18:19], v[246:247], v[250:251]
	v_fma_f64 v[38:39], v[16:17], s[14:15], -v[36:37]
	v_fma_f64 v[36:37], v[16:17], s[14:15], v[36:37]
	v_fma_f64 v[16:17], v[16:17], s[20:21], v[22:23]
	v_add_f64 v[4:5], v[12:13], v[248:249]
	v_add_f64 v[22:23], v[236:237], -v[242:243]
	v_mov_b32_e32 v163, v161
	v_mul_f64 v[32:33], v[20:21], s[26:27]
	v_mul_f64 v[40:41], v[20:21], s[38:39]
	;; [unrolled: 1-line block ×5, first 2 shown]
	v_add_f64 v[38:39], v[12:13], v[38:39]
	v_add_f64 v[36:37], v[12:13], v[36:37]
	;; [unrolled: 1-line block ×3, first 2 shown]
	v_fma_f64 v[34:35], v[18:19], s[2:3], v[32:33]
	v_fma_f64 v[32:33], v[18:19], s[2:3], -v[32:33]
	v_fma_f64 v[42:43], v[18:19], s[14:15], v[40:41]
	v_fma_f64 v[40:41], v[18:19], s[14:15], -v[40:41]
	;; [unrolled: 2-line block ×5, first 2 shown]
	v_add_f64 v[34:35], v[14:15], v[34:35]
	v_add_f64 v[32:33], v[14:15], v[32:33]
	;; [unrolled: 1-line block ×11, first 2 shown]
	v_mul_f64 v[64:65], v[22:23], s[38:39]
	v_add_f64 v[20:21], v[238:239], -v[244:245]
	v_add_f64 v[18:19], v[236:237], v[242:243]
	v_add_f64 v[4:5], v[4:5], v[238:239]
	v_mov_b32_e32 v162, v160
	v_fma_f64 v[66:67], v[16:17], s[14:15], -v[64:65]
	v_fma_f64 v[64:65], v[16:17], s[14:15], v[64:65]
	v_add_f64 v[4:5], v[4:5], v[234:235]
	v_add_f64 v[30:31], v[66:67], v[30:31]
	v_mul_f64 v[66:67], v[20:21], s[38:39]
	v_add_f64 v[28:29], v[64:65], v[28:29]
	v_add_f64 v[4:5], v[4:5], v[226:227]
	v_fma_f64 v[64:65], v[18:19], s[14:15], -v[66:67]
	v_fma_f64 v[68:69], v[18:19], s[14:15], v[66:67]
	v_add_f64 v[4:5], v[4:5], v[220:221]
	v_add_f64 v[32:33], v[64:65], v[32:33]
	v_mul_f64 v[64:65], v[22:23], s[24:25]
	v_add_f64 v[34:35], v[68:69], v[34:35]
	v_add_f64 v[4:5], v[4:5], v[222:223]
	;; [unrolled: 7-line block ×4, first 2 shown]
	buffer_store_dword v4, off, s[44:47], 0 offset:1336 ; 4-byte Folded Spill
	s_nop 0
	buffer_store_dword v5, off, s[44:47], 0 offset:1340 ; 4-byte Folded Spill
	buffer_store_dword v6, off, s[44:47], 0 offset:1344 ; 4-byte Folded Spill
	;; [unrolled: 1-line block ×3, first 2 shown]
	v_fma_f64 v[66:67], v[16:17], s[20:21], -v[64:65]
	v_fma_f64 v[64:65], v[16:17], s[20:21], v[64:65]
	v_add_f64 v[46:47], v[66:67], v[46:47]
	v_mul_f64 v[66:67], v[20:21], s[40:41]
	v_add_f64 v[44:45], v[64:65], v[44:45]
	v_fma_f64 v[64:65], v[18:19], s[20:21], -v[66:67]
	v_fma_f64 v[68:69], v[18:19], s[20:21], v[66:67]
	v_add_f64 v[48:49], v[64:65], v[48:49]
	v_mul_f64 v[64:65], v[22:23], s[36:37]
	v_mul_f64 v[22:23], v[22:23], s[34:35]
	v_add_f64 v[50:51], v[68:69], v[50:51]
	v_fma_f64 v[66:67], v[16:17], s[16:17], -v[64:65]
	v_fma_f64 v[64:65], v[16:17], s[16:17], v[64:65]
	v_add_f64 v[54:55], v[66:67], v[54:55]
	v_mul_f64 v[66:67], v[20:21], s[36:37]
	v_add_f64 v[52:53], v[64:65], v[52:53]
	v_mul_f64 v[20:21], v[20:21], s[34:35]
	v_fma_f64 v[64:65], v[18:19], s[16:17], -v[66:67]
	v_fma_f64 v[68:69], v[18:19], s[16:17], v[66:67]
	v_add_f64 v[56:57], v[64:65], v[56:57]
	v_fma_f64 v[64:65], v[16:17], s[2:3], -v[22:23]
	v_fma_f64 v[16:17], v[16:17], s[2:3], v[22:23]
	v_add_f64 v[22:23], v[228:229], -v[232:233]
	v_add_f64 v[58:59], v[68:69], v[58:59]
	v_add_f64 v[60:61], v[64:65], v[60:61]
	v_fma_f64 v[64:65], v[18:19], s[2:3], v[20:21]
	v_add_f64 v[12:13], v[16:17], v[12:13]
	v_fma_f64 v[16:17], v[18:19], s[2:3], -v[20:21]
	v_add_f64 v[20:21], v[234:235], -v[240:241]
	v_add_f64 v[18:19], v[228:229], v[232:233]
	v_add_f64 v[62:63], v[64:65], v[62:63]
	v_mul_f64 v[64:65], v[22:23], s[22:23]
	v_add_f64 v[14:15], v[16:17], v[14:15]
	v_add_f64 v[16:17], v[234:235], v[240:241]
	v_fma_f64 v[66:67], v[16:17], s[16:17], -v[64:65]
	v_fma_f64 v[64:65], v[16:17], s[16:17], v[64:65]
	v_add_f64 v[30:31], v[66:67], v[30:31]
	v_mul_f64 v[66:67], v[20:21], s[22:23]
	v_add_f64 v[28:29], v[64:65], v[28:29]
	v_fma_f64 v[64:65], v[18:19], s[16:17], -v[66:67]
	v_fma_f64 v[68:69], v[18:19], s[16:17], v[66:67]
	v_add_f64 v[32:33], v[64:65], v[32:33]
	v_mul_f64 v[64:65], v[22:23], s[40:41]
	;; [unrolled: 5-line block ×6, first 2 shown]
	v_mul_f64 v[22:23], v[22:23], s[24:25]
	v_add_f64 v[50:51], v[68:69], v[50:51]
	v_fma_f64 v[66:67], v[16:17], s[2:3], -v[64:65]
	v_fma_f64 v[64:65], v[16:17], s[2:3], v[64:65]
	v_add_f64 v[54:55], v[66:67], v[54:55]
	v_mul_f64 v[66:67], v[20:21], s[26:27]
	v_add_f64 v[52:53], v[64:65], v[52:53]
	v_mul_f64 v[20:21], v[20:21], s[24:25]
	v_fma_f64 v[64:65], v[18:19], s[2:3], -v[66:67]
	v_fma_f64 v[68:69], v[18:19], s[2:3], v[66:67]
	v_add_f64 v[56:57], v[64:65], v[56:57]
	v_fma_f64 v[64:65], v[16:17], s[18:19], -v[22:23]
	v_fma_f64 v[16:17], v[16:17], s[18:19], v[22:23]
	v_add_f64 v[22:23], v[218:219], -v[224:225]
	v_add_f64 v[58:59], v[68:69], v[58:59]
	v_add_f64 v[60:61], v[64:65], v[60:61]
	v_fma_f64 v[64:65], v[18:19], s[18:19], v[20:21]
	v_add_f64 v[12:13], v[16:17], v[12:13]
	v_fma_f64 v[16:17], v[18:19], s[18:19], -v[20:21]
	v_add_f64 v[20:21], v[226:227], -v[230:231]
	v_add_f64 v[18:19], v[218:219], v[224:225]
	v_add_f64 v[62:63], v[64:65], v[62:63]
	v_mul_f64 v[64:65], v[22:23], s[24:25]
	v_add_f64 v[14:15], v[16:17], v[14:15]
	v_add_f64 v[16:17], v[226:227], v[230:231]
	v_add_f64 v[226:227], v[144:145], -v[166:167]
	v_fma_f64 v[66:67], v[16:17], s[18:19], -v[64:65]
	v_fma_f64 v[64:65], v[16:17], s[18:19], v[64:65]
	v_add_f64 v[30:31], v[66:67], v[30:31]
	v_mul_f64 v[66:67], v[20:21], s[24:25]
	v_add_f64 v[28:29], v[64:65], v[28:29]
	v_fma_f64 v[64:65], v[18:19], s[18:19], -v[66:67]
	v_fma_f64 v[68:69], v[18:19], s[18:19], v[66:67]
	v_add_f64 v[32:33], v[64:65], v[32:33]
	v_mul_f64 v[64:65], v[22:23], s[36:37]
	v_add_f64 v[34:35], v[68:69], v[34:35]
	;; [unrolled: 5-line block ×4, first 2 shown]
	v_fma_f64 v[66:67], v[16:17], s[2:3], -v[64:65]
	v_add_f64 v[66:67], v[66:67], v[46:47]
	v_mul_f64 v[46:47], v[20:21], s[26:27]
	v_fma_f64 v[68:69], v[18:19], s[2:3], v[46:47]
	v_add_f64 v[68:69], v[68:69], v[50:51]
	v_fma_f64 v[50:51], v[16:17], s[2:3], v[64:65]
	v_add_f64 v[64:65], v[50:51], v[44:45]
	v_fma_f64 v[44:45], v[18:19], s[2:3], -v[46:47]
	v_add_f64 v[70:71], v[44:45], v[48:49]
	v_mul_f64 v[44:45], v[22:23], s[28:29]
	v_mul_f64 v[22:23], v[22:23], s[30:31]
	v_fma_f64 v[46:47], v[16:17], s[20:21], -v[44:45]
	v_fma_f64 v[44:45], v[16:17], s[20:21], v[44:45]
	v_add_f64 v[72:73], v[46:47], v[54:55]
	v_mul_f64 v[46:47], v[20:21], s[28:29]
	v_add_f64 v[76:77], v[44:45], v[52:53]
	v_mul_f64 v[20:21], v[20:21], s[30:31]
	v_fma_f64 v[44:45], v[18:19], s[20:21], -v[46:47]
	v_fma_f64 v[48:49], v[18:19], s[20:21], v[46:47]
	v_mov_b32_e32 v46, v78
	v_mov_b32_e32 v47, v79
	v_add_f64 v[228:229], v[146:147], -v[46:47]
	v_add_f64 v[78:79], v[44:45], v[56:57]
	v_fma_f64 v[44:45], v[16:17], s[14:15], -v[22:23]
	v_fma_f64 v[16:17], v[16:17], s[14:15], v[22:23]
	v_add_f64 v[74:75], v[48:49], v[58:59]
	v_add_f64 v[84:85], v[44:45], v[60:61]
	;; [unrolled: 1-line block ×3, first 2 shown]
	v_fma_f64 v[12:13], v[18:19], s[14:15], -v[20:21]
	v_fma_f64 v[44:45], v[18:19], s[14:15], v[20:21]
	v_add_f64 v[20:21], v[12:13], v[14:15]
	v_mul_f64 v[12:13], v[94:95], s[28:29]
	v_add_f64 v[86:87], v[44:45], v[62:63]
	v_mov_b32_e32 v44, v166
	v_mov_b32_e32 v45, v167
	v_fma_f64 v[14:15], v[88:89], s[20:21], -v[12:13]
	v_fma_f64 v[12:13], v[88:89], s[20:21], v[12:13]
	v_add_f64 v[16:17], v[14:15], v[30:31]
	v_add_f64 v[12:13], v[12:13], v[28:29]
	v_mul_f64 v[28:29], v[94:95], s[34:35]
	v_mul_f64 v[14:15], v[92:93], s[28:29]
	v_fma_f64 v[30:31], v[88:89], s[2:3], -v[28:29]
	v_fma_f64 v[28:29], v[88:89], s[2:3], v[28:29]
	v_fma_f64 v[18:19], v[90:91], s[20:21], v[14:15]
	v_fma_f64 v[14:15], v[90:91], s[20:21], -v[14:15]
	v_add_f64 v[48:49], v[30:31], v[38:39]
	v_mul_f64 v[30:31], v[92:93], s[34:35]
	v_add_f64 v[4:5], v[28:29], v[36:37]
	v_add_f64 v[14:15], v[14:15], v[32:33]
	;; [unrolled: 1-line block ×3, first 2 shown]
	v_fma_f64 v[28:29], v[90:91], s[2:3], -v[30:31]
	v_fma_f64 v[32:33], v[90:91], s[2:3], v[30:31]
	v_add_f64 v[6:7], v[28:29], v[40:41]
	v_mul_f64 v[28:29], v[94:95], s[24:25]
	v_add_f64 v[50:51], v[32:33], v[42:43]
	v_fma_f64 v[30:31], v[88:89], s[18:19], -v[28:29]
	v_fma_f64 v[28:29], v[88:89], s[18:19], v[28:29]
	v_add_f64 v[52:53], v[30:31], v[66:67]
	v_mul_f64 v[30:31], v[92:93], s[24:25]
	v_add_f64 v[56:57], v[28:29], v[64:65]
	;; [unrolled: 5-line block ×6, first 2 shown]
	v_add_f64 v[28:29], v[212:213], -v[102:103]
	v_fma_f64 v[22:23], v[90:91], s[16:17], -v[30:31]
	v_fma_f64 v[32:33], v[90:91], s[16:17], v[30:31]
	v_mul_f64 v[36:37], v[28:29], s[26:27]
	v_mul_f64 v[84:85], v[28:29], s[38:39]
	;; [unrolled: 1-line block ×3, first 2 shown]
	v_add_f64 v[30:31], v[210:211], -v[96:97]
	v_add_f64 v[74:75], v[22:23], v[20:21]
	v_add_f64 v[20:21], v[80:81], v[212:213]
	v_add_f64 v[22:23], v[82:83], v[210:211]
	v_add_f64 v[70:71], v[32:33], v[86:87]
	v_mul_f64 v[32:33], v[30:31], s[26:27]
	v_mul_f64 v[40:41], v[30:31], s[38:39]
	;; [unrolled: 1-line block ×3, first 2 shown]
	v_add_f64 v[20:21], v[20:21], v[208:209]
	v_add_f64 v[22:23], v[22:23], v[206:207]
	;; [unrolled: 1-line block ×20, first 2 shown]
	v_mul_f64 v[102:103], v[28:29], s[24:25]
	v_mul_f64 v[28:29], v[28:29], s[28:29]
	;; [unrolled: 1-line block ×4, first 2 shown]
	v_fma_f64 v[34:35], v[20:21], s[2:3], -v[32:33]
	v_fma_f64 v[38:39], v[22:23], s[2:3], v[36:37]
	v_fma_f64 v[36:37], v[22:23], s[2:3], -v[36:37]
	v_fma_f64 v[86:87], v[22:23], s[14:15], v[84:85]
	;; [unrolled: 2-line block ×5, first 2 shown]
	v_fma_f64 v[22:23], v[22:23], s[20:21], -v[28:29]
	v_add_f64 v[38:39], v[82:83], v[38:39]
	v_add_f64 v[36:37], v[82:83], v[36:37]
	;; [unrolled: 1-line block ×10, first 2 shown]
	v_add_f64 v[82:83], v[206:207], -v[100:101]
	v_fma_f64 v[32:33], v[20:21], s[2:3], v[32:33]
	v_fma_f64 v[42:43], v[20:21], s[14:15], -v[40:41]
	v_fma_f64 v[40:41], v[20:21], s[14:15], v[40:41]
	v_fma_f64 v[90:91], v[20:21], s[16:17], -v[88:89]
	;; [unrolled: 2-line block ×4, first 2 shown]
	v_fma_f64 v[20:21], v[20:21], s[20:21], v[30:31]
	v_add_f64 v[28:29], v[208:209], v[106:107]
	v_add_f64 v[30:31], v[206:207], v[100:101]
	v_mul_f64 v[100:101], v[82:83], s[38:39]
	v_add_f64 v[34:35], v[80:81], v[34:35]
	v_add_f64 v[32:33], v[80:81], v[32:33]
	;; [unrolled: 1-line block ×10, first 2 shown]
	v_add_f64 v[80:81], v[208:209], -v[106:107]
	v_fma_f64 v[106:107], v[28:29], s[14:15], -v[100:101]
	v_fma_f64 v[100:101], v[28:29], s[14:15], v[100:101]
	v_add_f64 v[34:35], v[106:107], v[34:35]
	v_mul_f64 v[106:107], v[80:81], s[38:39]
	v_add_f64 v[32:33], v[100:101], v[32:33]
	v_fma_f64 v[100:101], v[30:31], s[14:15], -v[106:107]
	v_fma_f64 v[206:207], v[30:31], s[14:15], v[106:107]
	v_add_f64 v[36:37], v[100:101], v[36:37]
	v_mul_f64 v[100:101], v[82:83], s[24:25]
	v_add_f64 v[38:39], v[206:207], v[38:39]
	;; [unrolled: 5-line block ×5, first 2 shown]
	v_fma_f64 v[100:101], v[30:31], s[20:21], -v[106:107]
	v_fma_f64 v[206:207], v[30:31], s[20:21], v[106:107]
	v_add_f64 v[92:93], v[100:101], v[92:93]
	v_mul_f64 v[100:101], v[82:83], s[36:37]
	v_mul_f64 v[82:83], v[82:83], s[34:35]
	v_add_f64 v[94:95], v[206:207], v[94:95]
	v_fma_f64 v[106:107], v[28:29], s[16:17], -v[100:101]
	v_fma_f64 v[100:101], v[28:29], s[16:17], v[100:101]
	v_add_f64 v[98:99], v[106:107], v[98:99]
	v_mul_f64 v[106:107], v[80:81], s[36:37]
	v_add_f64 v[96:97], v[100:101], v[96:97]
	v_mul_f64 v[80:81], v[80:81], s[34:35]
	v_fma_f64 v[100:101], v[30:31], s[16:17], -v[106:107]
	v_fma_f64 v[206:207], v[30:31], s[16:17], v[106:107]
	v_fma_f64 v[106:107], v[30:31], s[2:3], v[80:81]
	v_add_f64 v[100:101], v[100:101], v[102:103]
	v_fma_f64 v[102:103], v[28:29], s[2:3], -v[82:83]
	v_fma_f64 v[28:29], v[28:29], s[2:3], v[82:83]
	v_add_f64 v[82:83], v[202:203], -v[104:105]
	v_add_f64 v[106:107], v[106:107], v[212:213]
	v_add_f64 v[176:177], v[206:207], v[176:177]
	;; [unrolled: 1-line block ×4, first 2 shown]
	v_fma_f64 v[28:29], v[30:31], s[2:3], -v[80:81]
	v_add_f64 v[30:31], v[202:203], v[104:105]
	v_mul_f64 v[104:105], v[82:83], s[22:23]
	v_add_f64 v[80:81], v[204:205], -v[110:111]
	v_add_f64 v[22:23], v[28:29], v[22:23]
	v_add_f64 v[28:29], v[204:205], v[110:111]
	v_fma_f64 v[110:111], v[28:29], s[16:17], -v[104:105]
	v_fma_f64 v[104:105], v[28:29], s[16:17], v[104:105]
	v_add_f64 v[34:35], v[110:111], v[34:35]
	v_mul_f64 v[110:111], v[80:81], s[22:23]
	v_add_f64 v[32:33], v[104:105], v[32:33]
	v_fma_f64 v[104:105], v[30:31], s[16:17], -v[110:111]
	v_fma_f64 v[202:203], v[30:31], s[16:17], v[110:111]
	v_add_f64 v[36:37], v[104:105], v[36:37]
	v_mul_f64 v[104:105], v[82:83], s[40:41]
	;; [unrolled: 5-line block ×6, first 2 shown]
	v_mul_f64 v[82:83], v[82:83], s[24:25]
	v_add_f64 v[94:95], v[202:203], v[94:95]
	v_fma_f64 v[110:111], v[28:29], s[2:3], -v[104:105]
	v_fma_f64 v[104:105], v[28:29], s[2:3], v[104:105]
	v_add_f64 v[98:99], v[110:111], v[98:99]
	v_mul_f64 v[110:111], v[80:81], s[26:27]
	v_add_f64 v[96:97], v[104:105], v[96:97]
	v_mul_f64 v[80:81], v[80:81], s[24:25]
	v_fma_f64 v[104:105], v[30:31], s[2:3], -v[110:111]
	v_fma_f64 v[202:203], v[30:31], s[2:3], v[110:111]
	v_add_f64 v[100:101], v[104:105], v[100:101]
	v_fma_f64 v[104:105], v[28:29], s[18:19], -v[82:83]
	v_fma_f64 v[28:29], v[28:29], s[18:19], v[82:83]
	v_add_f64 v[82:83], v[196:197], -v[108:109]
	v_add_f64 v[176:177], v[202:203], v[176:177]
	v_add_f64 v[102:103], v[104:105], v[102:103]
	v_fma_f64 v[104:105], v[30:31], s[18:19], v[80:81]
	v_add_f64 v[20:21], v[28:29], v[20:21]
	v_fma_f64 v[28:29], v[30:31], s[18:19], -v[80:81]
	v_add_f64 v[30:31], v[196:197], v[108:109]
	v_add_f64 v[80:81], v[200:201], -v[114:115]
	v_add_f64 v[104:105], v[104:105], v[106:107]
	v_mul_f64 v[106:107], v[82:83], s[24:25]
	v_add_f64 v[22:23], v[28:29], v[22:23]
	v_add_f64 v[28:29], v[200:201], v[114:115]
	v_fma_f64 v[108:109], v[28:29], s[18:19], -v[106:107]
	v_fma_f64 v[106:107], v[28:29], s[18:19], v[106:107]
	v_add_f64 v[34:35], v[108:109], v[34:35]
	v_mul_f64 v[108:109], v[80:81], s[24:25]
	v_add_f64 v[32:33], v[106:107], v[32:33]
	v_fma_f64 v[106:107], v[30:31], s[18:19], -v[108:109]
	v_fma_f64 v[110:111], v[30:31], s[18:19], v[108:109]
	v_add_f64 v[36:37], v[106:107], v[36:37]
	v_mul_f64 v[106:107], v[82:83], s[36:37]
	v_add_f64 v[38:39], v[110:111], v[38:39]
	v_fma_f64 v[108:109], v[28:29], s[16:17], -v[106:107]
	v_add_f64 v[42:43], v[108:109], v[42:43]
	v_mul_f64 v[108:109], v[80:81], s[36:37]
	v_fma_f64 v[110:111], v[30:31], s[16:17], v[108:109]
	v_add_f64 v[110:111], v[110:111], v[86:87]
	v_fma_f64 v[86:87], v[28:29], s[16:17], v[106:107]
	v_add_f64 v[40:41], v[86:87], v[40:41]
	v_fma_f64 v[86:87], v[30:31], s[16:17], -v[108:109]
	v_add_f64 v[106:107], v[86:87], v[84:85]
	v_mul_f64 v[84:85], v[82:83], s[26:27]
	v_fma_f64 v[86:87], v[28:29], s[2:3], -v[84:85]
	v_fma_f64 v[84:85], v[28:29], s[2:3], v[84:85]
	v_add_f64 v[108:109], v[86:87], v[90:91]
	v_mul_f64 v[86:87], v[80:81], s[26:27]
	v_add_f64 v[196:197], v[84:85], v[88:89]
	v_fma_f64 v[84:85], v[30:31], s[2:3], -v[86:87]
	v_fma_f64 v[90:91], v[30:31], s[2:3], v[86:87]
	v_add_f64 v[200:201], v[84:85], v[92:93]
	v_mul_f64 v[84:85], v[82:83], s[28:29]
	v_mul_f64 v[82:83], v[82:83], s[30:31]
	v_add_f64 v[114:115], v[90:91], v[94:95]
	v_fma_f64 v[86:87], v[28:29], s[20:21], -v[84:85]
	v_fma_f64 v[84:85], v[28:29], s[20:21], v[84:85]
	v_add_f64 v[202:203], v[86:87], v[98:99]
	v_mul_f64 v[86:87], v[80:81], s[28:29]
	v_add_f64 v[204:205], v[84:85], v[96:97]
	v_mul_f64 v[80:81], v[80:81], s[30:31]
	v_fma_f64 v[84:85], v[30:31], s[20:21], -v[86:87]
	v_fma_f64 v[88:89], v[30:31], s[20:21], v[86:87]
	v_add_f64 v[206:207], v[84:85], v[100:101]
	v_fma_f64 v[84:85], v[28:29], s[14:15], -v[82:83]
	v_fma_f64 v[28:29], v[28:29], s[14:15], v[82:83]
	v_add_f64 v[176:177], v[88:89], v[176:177]
	v_add_f64 v[208:209], v[84:85], v[102:103]
	v_fma_f64 v[84:85], v[30:31], s[14:15], v[80:81]
	v_add_f64 v[20:21], v[28:29], v[20:21]
	v_fma_f64 v[28:29], v[30:31], s[14:15], -v[80:81]
	v_add_f64 v[30:31], v[116:117], v[112:113]
	v_add_f64 v[112:113], v[116:117], -v[112:113]
	v_add_f64 v[210:211], v[84:85], v[104:105]
	v_add_f64 v[22:23], v[28:29], v[22:23]
	;; [unrolled: 1-line block ×3, first 2 shown]
	v_mul_f64 v[80:81], v[112:113], s[28:29]
	v_add_f64 v[118:119], v[198:199], -v[118:119]
	v_fma_f64 v[82:83], v[28:29], s[20:21], -v[80:81]
	v_add_f64 v[84:85], v[82:83], v[34:35]
	v_mul_f64 v[34:35], v[118:119], s[28:29]
	v_fma_f64 v[82:83], v[30:31], s[20:21], v[34:35]
	v_add_f64 v[86:87], v[82:83], v[38:39]
	v_fma_f64 v[38:39], v[28:29], s[20:21], v[80:81]
	v_add_f64 v[80:81], v[38:39], v[32:33]
	v_fma_f64 v[32:33], v[30:31], s[20:21], -v[34:35]
	v_add_f64 v[82:83], v[32:33], v[36:37]
	v_mul_f64 v[32:33], v[112:113], s[34:35]
	v_fma_f64 v[34:35], v[28:29], s[2:3], -v[32:33]
	v_fma_f64 v[32:33], v[28:29], s[2:3], v[32:33]
	v_add_f64 v[92:93], v[34:35], v[42:43]
	v_mul_f64 v[34:35], v[118:119], s[34:35]
	v_add_f64 v[88:89], v[32:33], v[40:41]
	v_fma_f64 v[32:33], v[30:31], s[2:3], -v[34:35]
	v_fma_f64 v[36:37], v[30:31], s[2:3], v[34:35]
	v_add_f64 v[90:91], v[32:33], v[106:107]
	v_mul_f64 v[32:33], v[112:113], s[24:25]
	v_add_f64 v[94:95], v[36:37], v[110:111]
	;; [unrolled: 5-line block ×6, first 2 shown]
	v_fma_f64 v[34:35], v[28:29], s[16:17], -v[32:33]
	v_fma_f64 v[28:29], v[28:29], s[16:17], v[32:33]
	v_add_f64 v[32:33], v[192:193], -v[194:195]
	v_add_f64 v[112:113], v[34:35], v[208:209]
	v_mul_f64 v[34:35], v[118:119], s[22:23]
	v_add_f64 v[20:21], v[28:29], v[20:21]
	v_mul_f64 v[38:39], v[32:33], s[26:27]
	v_mul_f64 v[198:199], v[32:33], s[22:23]
	v_mul_f64 v[206:207], v[32:33], s[24:25]
	v_fma_f64 v[36:37], v[30:31], s[16:17], v[34:35]
	v_fma_f64 v[28:29], v[30:31], s[16:17], -v[34:35]
	v_add_f64 v[30:31], v[10:11], v[190:191]
	v_add_f64 v[114:115], v[36:37], v[210:211]
	;; [unrolled: 1-line block ×22, first 2 shown]
	v_add_f64 v[26:27], v[190:191], -v[26:27]
	v_mul_f64 v[190:191], v[32:33], s[38:39]
	v_mul_f64 v[32:33], v[32:33], s[28:29]
	v_add_f64 v[116:117], v[28:29], v[194:195]
	v_add_f64 v[28:29], v[192:193], v[194:195]
	v_fma_f64 v[40:41], v[30:31], s[2:3], v[38:39]
	v_mul_f64 v[34:35], v[26:27], s[26:27]
	v_mul_f64 v[42:43], v[26:27], s[38:39]
	;; [unrolled: 1-line block ×5, first 2 shown]
	v_fma_f64 v[38:39], v[30:31], s[2:3], -v[38:39]
	v_fma_f64 v[192:193], v[30:31], s[14:15], v[190:191]
	v_fma_f64 v[190:191], v[30:31], s[14:15], -v[190:191]
	v_fma_f64 v[36:37], v[28:29], s[2:3], -v[34:35]
	v_fma_f64 v[34:35], v[28:29], s[2:3], v[34:35]
	v_fma_f64 v[176:177], v[28:29], s[14:15], -v[42:43]
	v_fma_f64 v[42:43], v[28:29], s[14:15], v[42:43]
	;; [unrolled: 2-line block ×5, first 2 shown]
	v_add_f64 v[36:37], v[8:9], v[36:37]
	v_add_f64 v[34:35], v[8:9], v[34:35]
	;; [unrolled: 1-line block ×5, first 2 shown]
	v_fma_f64 v[200:201], v[30:31], s[16:17], v[198:199]
	v_add_f64 v[194:195], v[8:9], v[194:195]
	v_fma_f64 v[198:199], v[30:31], s[16:17], -v[198:199]
	v_add_f64 v[204:205], v[8:9], v[204:205]
	v_fma_f64 v[208:209], v[30:31], s[18:19], v[206:207]
	v_add_f64 v[202:203], v[8:9], v[202:203]
	v_fma_f64 v[206:207], v[30:31], s[18:19], -v[206:207]
	v_add_f64 v[210:211], v[8:9], v[210:211]
	;; [unrolled: 4-line block ×3, first 2 shown]
	v_add_f64 v[24:25], v[182:183], -v[24:25]
	v_add_f64 v[40:41], v[10:11], v[40:41]
	v_add_f64 v[38:39], v[10:11], v[38:39]
	;; [unrolled: 1-line block ×11, first 2 shown]
	v_mul_f64 v[32:33], v[24:25], s[38:39]
	v_add_f64 v[30:31], v[184:185], -v[188:189]
	v_fma_f64 v[182:183], v[26:27], s[14:15], -v[32:33]
	v_fma_f64 v[32:33], v[26:27], s[14:15], v[32:33]
	v_add_f64 v[36:37], v[182:183], v[36:37]
	v_mul_f64 v[182:183], v[30:31], s[38:39]
	v_add_f64 v[32:33], v[32:33], v[34:35]
	v_fma_f64 v[34:35], v[28:29], s[14:15], -v[182:183]
	v_fma_f64 v[184:185], v[28:29], s[14:15], v[182:183]
	v_add_f64 v[34:35], v[34:35], v[38:39]
	v_mul_f64 v[38:39], v[24:25], s[24:25]
	v_add_f64 v[40:41], v[184:185], v[40:41]
	;; [unrolled: 5-line block ×3, first 2 shown]
	v_fma_f64 v[184:185], v[28:29], s[18:19], v[182:183]
	v_fma_f64 v[42:43], v[28:29], s[18:19], -v[182:183]
	v_mul_f64 v[182:183], v[24:25], s[40:41]
	v_add_f64 v[184:185], v[184:185], v[192:193]
	v_add_f64 v[42:43], v[42:43], v[190:191]
	v_fma_f64 v[188:189], v[26:27], s[20:21], -v[182:183]
	v_fma_f64 v[182:183], v[26:27], s[20:21], v[182:183]
	v_mul_f64 v[190:191], v[30:31], s[40:41]
	v_add_f64 v[188:189], v[188:189], v[196:197]
	v_add_f64 v[182:183], v[182:183], v[194:195]
	v_mul_f64 v[194:195], v[24:25], s[36:37]
	v_fma_f64 v[192:193], v[28:29], s[20:21], v[190:191]
	v_fma_f64 v[190:191], v[28:29], s[20:21], -v[190:191]
	v_mul_f64 v[24:25], v[24:25], s[34:35]
	v_fma_f64 v[196:197], v[26:27], s[16:17], -v[194:195]
	v_fma_f64 v[194:195], v[26:27], s[16:17], v[194:195]
	v_add_f64 v[190:191], v[190:191], v[198:199]
	v_mul_f64 v[198:199], v[30:31], s[36:37]
	v_mul_f64 v[30:31], v[30:31], s[34:35]
	v_add_f64 v[192:193], v[192:193], v[200:201]
	v_add_f64 v[196:197], v[196:197], v[204:205]
	v_add_f64 v[194:195], v[194:195], v[202:203]
	v_fma_f64 v[202:203], v[26:27], s[2:3], -v[24:25]
	v_fma_f64 v[24:25], v[26:27], s[2:3], v[24:25]
	v_fma_f64 v[204:205], v[28:29], s[2:3], v[30:31]
	v_add_f64 v[26:27], v[134:135], v[178:179]
	v_fma_f64 v[200:201], v[28:29], s[16:17], v[198:199]
	v_fma_f64 v[198:199], v[28:29], s[16:17], -v[198:199]
	v_add_f64 v[202:203], v[202:203], v[210:211]
	v_add_f64 v[8:9], v[24:25], v[8:9]
	v_fma_f64 v[24:25], v[28:29], s[2:3], -v[30:31]
	v_add_f64 v[30:31], v[134:135], -v[178:179]
	v_add_f64 v[28:29], v[180:181], -v[186:187]
	v_add_f64 v[198:199], v[198:199], v[206:207]
	v_add_f64 v[200:201], v[200:201], v[208:209]
	;; [unrolled: 1-line block ×5, first 2 shown]
	v_mul_f64 v[134:135], v[30:31], s[22:23]
	v_fma_f64 v[178:179], v[24:25], s[16:17], -v[134:135]
	v_fma_f64 v[134:135], v[24:25], s[16:17], v[134:135]
	v_add_f64 v[36:37], v[178:179], v[36:37]
	v_mul_f64 v[178:179], v[28:29], s[22:23]
	v_add_f64 v[32:33], v[134:135], v[32:33]
	v_fma_f64 v[134:135], v[26:27], s[16:17], -v[178:179]
	v_fma_f64 v[180:181], v[26:27], s[16:17], v[178:179]
	v_add_f64 v[34:35], v[134:135], v[34:35]
	v_mul_f64 v[134:135], v[30:31], s[40:41]
	v_add_f64 v[40:41], v[180:181], v[40:41]
	;; [unrolled: 5-line block ×4, first 2 shown]
	v_mul_f64 v[184:185], v[28:29], s[30:31]
	v_fma_f64 v[178:179], v[24:25], s[14:15], -v[134:135]
	v_fma_f64 v[134:135], v[24:25], s[14:15], v[134:135]
	v_fma_f64 v[186:187], v[26:27], s[14:15], v[184:185]
	v_add_f64 v[178:179], v[178:179], v[188:189]
	v_add_f64 v[134:135], v[134:135], v[182:183]
	v_fma_f64 v[182:183], v[26:27], s[14:15], -v[184:185]
	v_mul_f64 v[184:185], v[30:31], s[26:27]
	v_mul_f64 v[30:31], v[30:31], s[24:25]
	v_add_f64 v[186:187], v[186:187], v[192:193]
	v_add_f64 v[182:183], v[182:183], v[190:191]
	v_fma_f64 v[188:189], v[24:25], s[2:3], -v[184:185]
	v_fma_f64 v[184:185], v[24:25], s[2:3], v[184:185]
	v_mul_f64 v[190:191], v[28:29], s[26:27]
	v_mul_f64 v[28:29], v[28:29], s[24:25]
	v_add_f64 v[188:189], v[188:189], v[196:197]
	v_add_f64 v[184:185], v[184:185], v[194:195]
	v_fma_f64 v[194:195], v[24:25], s[18:19], -v[30:31]
	v_fma_f64 v[24:25], v[24:25], s[18:19], v[30:31]
	v_add_f64 v[30:31], v[128:129], -v[130:131]
	v_fma_f64 v[192:193], v[26:27], s[2:3], v[190:191]
	v_fma_f64 v[190:191], v[26:27], s[2:3], -v[190:191]
	v_fma_f64 v[196:197], v[26:27], s[18:19], v[28:29]
	v_add_f64 v[194:195], v[194:195], v[202:203]
	v_add_f64 v[8:9], v[24:25], v[8:9]
	v_fma_f64 v[24:25], v[26:27], s[18:19], -v[28:29]
	v_add_f64 v[26:27], v[128:129], v[130:131]
	v_mul_f64 v[128:129], v[30:31], s[24:25]
	v_add_f64 v[28:29], v[132:133], -v[136:137]
	v_add_f64 v[190:191], v[190:191], v[198:199]
	v_add_f64 v[192:193], v[192:193], v[200:201]
	v_add_f64 v[200:201], v[120:121], -v[122:123]
	v_add_f64 v[196:197], v[196:197], v[204:205]
	v_add_f64 v[10:11], v[24:25], v[10:11]
	;; [unrolled: 1-line block ×3, first 2 shown]
	v_add_f64 v[198:199], v[124:125], -v[126:127]
	v_fma_f64 v[130:131], v[24:25], s[18:19], -v[128:129]
	v_fma_f64 v[128:129], v[24:25], s[18:19], v[128:129]
	v_add_f64 v[36:37], v[130:131], v[36:37]
	v_mul_f64 v[130:131], v[28:29], s[24:25]
	v_add_f64 v[32:33], v[128:129], v[32:33]
	v_fma_f64 v[128:129], v[26:27], s[18:19], -v[130:131]
	v_fma_f64 v[132:133], v[26:27], s[18:19], v[130:131]
	v_add_f64 v[34:35], v[128:129], v[34:35]
	v_mul_f64 v[128:129], v[30:31], s[36:37]
	v_add_f64 v[40:41], v[132:133], v[40:41]
	v_mul_f64 v[132:133], v[28:29], s[36:37]
	v_fma_f64 v[130:131], v[24:25], s[16:17], -v[128:129]
	v_fma_f64 v[128:129], v[24:25], s[16:17], v[128:129]
	v_fma_f64 v[136:137], v[26:27], s[16:17], v[132:133]
	v_add_f64 v[130:131], v[130:131], v[176:177]
	v_add_f64 v[38:39], v[128:129], v[38:39]
	v_fma_f64 v[128:129], v[26:27], s[16:17], -v[132:133]
	v_mul_f64 v[176:177], v[28:29], s[26:27]
	v_add_f64 v[136:137], v[136:137], v[180:181]
	v_add_f64 v[42:43], v[128:129], v[42:43]
	v_mul_f64 v[128:129], v[30:31], s[26:27]
	v_fma_f64 v[132:133], v[24:25], s[2:3], -v[128:129]
	v_fma_f64 v[128:129], v[24:25], s[2:3], v[128:129]
	v_add_f64 v[132:133], v[132:133], v[178:179]
	v_fma_f64 v[178:179], v[26:27], s[2:3], v[176:177]
	v_add_f64 v[128:129], v[128:129], v[134:135]
	v_fma_f64 v[134:135], v[26:27], s[2:3], -v[176:177]
	v_mul_f64 v[176:177], v[30:31], s[28:29]
	v_mul_f64 v[30:31], v[30:31], s[30:31]
	v_add_f64 v[178:179], v[178:179], v[186:187]
	v_add_f64 v[134:135], v[134:135], v[182:183]
	v_fma_f64 v[180:181], v[24:25], s[20:21], -v[176:177]
	v_mul_f64 v[182:183], v[28:29], s[28:29]
	v_fma_f64 v[176:177], v[24:25], s[20:21], v[176:177]
	v_mul_f64 v[28:29], v[28:29], s[30:31]
	v_add_f64 v[180:181], v[180:181], v[188:189]
	v_fma_f64 v[186:187], v[26:27], s[20:21], v[182:183]
	v_add_f64 v[176:177], v[176:177], v[184:185]
	v_fma_f64 v[182:183], v[26:27], s[20:21], -v[182:183]
	v_fma_f64 v[184:185], v[24:25], s[14:15], -v[30:31]
	v_fma_f64 v[24:25], v[24:25], s[14:15], v[30:31]
	v_fma_f64 v[188:189], v[26:27], s[14:15], v[28:29]
	v_add_f64 v[186:187], v[186:187], v[192:193]
	v_add_f64 v[182:183], v[182:183], v[190:191]
	;; [unrolled: 1-line block ×4, first 2 shown]
	v_fma_f64 v[8:9], v[26:27], s[14:15], -v[28:29]
	v_add_f64 v[194:195], v[124:125], v[126:127]
	v_add_f64 v[188:189], v[188:189], v[196:197]
	v_add_f64 v[196:197], v[120:121], v[122:123]
	v_mul_f64 v[28:29], v[200:201], s[34:35]
	v_mul_f64 v[124:125], v[200:201], s[30:31]
	;; [unrolled: 1-line block ×3, first 2 shown]
	v_add_f64 v[192:193], v[8:9], v[10:11]
	v_mul_f64 v[8:9], v[200:201], s[28:29]
	v_fma_f64 v[30:31], v[194:195], s[2:3], -v[28:29]
	v_fma_f64 v[28:29], v[194:195], s[2:3], v[28:29]
	v_fma_f64 v[120:121], v[194:195], s[14:15], -v[124:125]
	v_fma_f64 v[124:125], v[194:195], s[14:15], v[124:125]
	v_fma_f64 v[122:123], v[196:197], s[14:15], v[126:127]
	v_fma_f64 v[10:11], v[194:195], s[20:21], -v[8:9]
	v_fma_f64 v[8:9], v[194:195], s[20:21], v[8:9]
	v_fma_f64 v[126:127], v[196:197], s[14:15], -v[126:127]
	v_add_f64 v[28:29], v[28:29], v[38:39]
	v_add_f64 v[120:121], v[120:121], v[180:181]
	;; [unrolled: 1-line block ×5, first 2 shown]
	v_mul_f64 v[10:11], v[198:199], s[28:29]
	v_add_f64 v[8:9], v[8:9], v[32:33]
	v_add_f64 v[32:33], v[30:31], v[130:131]
	v_mul_f64 v[30:31], v[198:199], s[34:35]
	v_add_f64 v[122:123], v[122:123], v[186:187]
	v_add_f64 v[126:127], v[126:127], v[182:183]
	v_fma_f64 v[26:27], v[196:197], s[20:21], v[10:11]
	v_fma_f64 v[10:11], v[196:197], s[20:21], -v[10:11]
	v_add_f64 v[26:27], v[26:27], v[40:41]
	v_mul_f64 v[40:41], v[200:201], s[24:25]
	v_add_f64 v[10:11], v[10:11], v[34:35]
	v_fma_f64 v[34:35], v[196:197], s[2:3], v[30:31]
	v_fma_f64 v[30:31], v[196:197], s[2:3], -v[30:31]
	v_fma_f64 v[36:37], v[194:195], s[18:19], -v[40:41]
	v_fma_f64 v[40:41], v[194:195], s[18:19], v[40:41]
	v_add_f64 v[34:35], v[34:35], v[136:137]
	v_add_f64 v[30:31], v[30:31], v[42:43]
	v_mul_f64 v[42:43], v[198:199], s[24:25]
	v_add_f64 v[136:137], v[138:139], -v[152:153]
	v_mov_b32_e32 v153, v149
	v_mov_b32_e32 v152, v148
	v_add_f64 v[36:37], v[36:37], v[132:133]
	v_mul_f64 v[132:133], v[200:201], s[22:23]
	v_add_f64 v[40:41], v[40:41], v[128:129]
	v_mov_b32_e32 v138, v170
	v_fma_f64 v[38:39], v[196:197], s[18:19], v[42:43]
	v_fma_f64 v[42:43], v[196:197], s[18:19], -v[42:43]
	v_mul_f64 v[182:183], v[136:137], s[26:27]
	v_mov_b32_e32 v139, v171
	v_mov_b32_e32 v170, v172
	v_fma_f64 v[128:129], v[194:195], s[16:17], -v[132:133]
	v_fma_f64 v[132:133], v[194:195], s[16:17], v[132:133]
	v_mov_b32_e32 v171, v173
	v_add_f64 v[38:39], v[38:39], v[178:179]
	v_add_f64 v[42:43], v[42:43], v[134:135]
	v_mul_f64 v[134:135], v[198:199], s[22:23]
	v_add_f64 v[178:179], v[142:143], v[160:161]
	v_add_f64 v[128:129], v[128:129], v[184:185]
	v_add_f64 v[184:185], v[142:143], -v[160:161]
	v_add_f64 v[132:133], v[132:133], v[190:191]
	v_mov_b32_e32 v142, v144
	buffer_load_dword v160, off, s[44:47], 0 offset:1400 ; 4-byte Folded Reload
	buffer_load_dword v161, off, s[44:47], 0 offset:1404 ; 4-byte Folded Reload
	v_fma_f64 v[130:131], v[196:197], s[16:17], v[134:135]
	v_fma_f64 v[134:135], v[196:197], s[16:17], -v[134:135]
	v_mov_b32_e32 v143, v145
	v_mul_f64 v[180:181], v[184:185], s[26:27]
	v_add_f64 v[130:131], v[130:131], v[188:189]
	v_add_f64 v[134:135], v[134:135], v[192:193]
	v_fma_f64 v[186:187], v[176:177], s[2:3], v[180:181]
	v_add_f64 v[192:193], v[0:1], v[186:187]
	v_fma_f64 v[186:187], v[178:179], s[2:3], -v[182:183]
	v_add_f64 v[194:195], v[2:3], v[186:187]
	v_mul_f64 v[186:187], v[184:185], s[38:39]
	v_fma_f64 v[188:189], v[176:177], s[14:15], -v[186:187]
	v_fma_f64 v[186:187], v[176:177], s[14:15], v[186:187]
	v_add_f64 v[196:197], v[0:1], v[188:189]
	v_mul_f64 v[188:189], v[136:137], s[38:39]
	v_add_f64 v[200:201], v[0:1], v[186:187]
	v_fma_f64 v[186:187], v[178:179], s[14:15], -v[188:189]
	v_fma_f64 v[190:191], v[178:179], s[14:15], v[188:189]
	v_add_f64 v[202:203], v[2:3], v[186:187]
	v_mul_f64 v[186:187], v[184:185], s[22:23]
	v_add_f64 v[198:199], v[2:3], v[190:191]
	;; [unrolled: 5-line block ×3, first 2 shown]
	v_fma_f64 v[186:187], v[178:179], s[16:17], -v[188:189]
	v_fma_f64 v[190:191], v[178:179], s[16:17], v[188:189]
	v_add_f64 v[210:211], v[2:3], v[186:187]
	v_mul_f64 v[186:187], v[184:185], s[24:25]
	v_mul_f64 v[184:185], v[184:185], s[28:29]
	v_add_f64 v[206:207], v[2:3], v[190:191]
	v_fma_f64 v[188:189], v[176:177], s[18:19], -v[186:187]
	v_fma_f64 v[186:187], v[176:177], s[18:19], v[186:187]
	v_add_f64 v[212:213], v[0:1], v[188:189]
	v_mul_f64 v[188:189], v[136:137], s[24:25]
	v_add_f64 v[216:217], v[0:1], v[186:187]
	v_mul_f64 v[136:137], v[136:137], s[28:29]
	v_fma_f64 v[186:187], v[178:179], s[18:19], -v[188:189]
	v_fma_f64 v[190:191], v[178:179], s[18:19], v[188:189]
	v_mul_f64 v[188:189], v[228:229], s[38:39]
	v_add_f64 v[218:219], v[2:3], v[186:187]
	v_fma_f64 v[186:187], v[176:177], s[20:21], -v[184:185]
	v_fma_f64 v[184:185], v[176:177], s[20:21], v[184:185]
	v_add_f64 v[214:215], v[2:3], v[190:191]
	v_mul_f64 v[190:191], v[226:227], s[38:39]
	v_add_f64 v[220:221], v[0:1], v[186:187]
	v_fma_f64 v[186:187], v[178:179], s[20:21], v[136:137]
	v_add_f64 v[224:225], v[0:1], v[184:185]
	v_add_f64 v[184:185], v[144:145], v[166:167]
	buffer_load_dword v144, off, s[44:47], 0 offset:1384 ; 4-byte Folded Reload
	buffer_load_dword v145, off, s[44:47], 0 offset:1388 ; 4-byte Folded Reload
	v_fma_f64 v[136:137], v[178:179], s[20:21], -v[136:137]
	v_mov_b32_e32 v166, v168
	v_mov_b32_e32 v167, v169
	v_add_f64 v[222:223], v[2:3], v[186:187]
	v_add_f64 v[186:187], v[146:147], v[46:47]
	v_fma_f64 v[230:231], v[184:185], s[14:15], v[188:189]
	v_add_f64 v[136:137], v[2:3], v[136:137]
	v_add_f64 v[230:231], v[230:231], v[192:193]
	v_fma_f64 v[192:193], v[186:187], s[14:15], -v[190:191]
	v_add_f64 v[232:233], v[192:193], v[194:195]
	v_mul_f64 v[192:193], v[228:229], s[24:25]
	v_fma_f64 v[194:195], v[184:185], s[18:19], -v[192:193]
	v_fma_f64 v[192:193], v[184:185], s[18:19], v[192:193]
	v_add_f64 v[234:235], v[194:195], v[196:197]
	v_mul_f64 v[194:195], v[226:227], s[24:25]
	v_add_f64 v[200:201], v[192:193], v[200:201]
	v_fma_f64 v[192:193], v[186:187], s[18:19], -v[194:195]
	v_fma_f64 v[196:197], v[186:187], s[18:19], v[194:195]
	v_add_f64 v[202:203], v[192:193], v[202:203]
	v_mul_f64 v[192:193], v[228:229], s[40:41]
	v_add_f64 v[236:237], v[196:197], v[198:199]
	;; [unrolled: 5-line block ×6, first 2 shown]
	v_add_f64 v[228:229], v[148:149], -v[168:169]
	v_fma_f64 v[194:195], v[184:185], s[2:3], -v[192:193]
	v_fma_f64 v[192:193], v[184:185], s[2:3], v[192:193]
	v_add_f64 v[220:221], v[194:195], v[220:221]
	v_mul_f64 v[194:195], v[226:227], s[34:35]
	v_add_f64 v[224:225], v[192:193], v[224:225]
	s_waitcnt vmcnt(0)
	v_add_f64 v[226:227], v[144:145], -v[160:161]
	v_fma_f64 v[196:197], v[186:187], s[2:3], v[194:195]
	v_fma_f64 v[192:193], v[186:187], s[2:3], -v[194:195]
	v_add_f64 v[194:195], v[148:149], v[168:169]
	v_mul_f64 v[198:199], v[226:227], s[22:23]
	buffer_load_dword v168, off, s[44:47], 0 offset:1368 ; 4-byte Folded Reload
	buffer_load_dword v169, off, s[44:47], 0 offset:1372 ; 4-byte Folded Reload
	v_mov_b32_e32 v148, v150
	v_mov_b32_e32 v149, v151
	v_add_f64 v[222:223], v[196:197], v[222:223]
	v_add_f64 v[136:137], v[192:193], v[136:137]
	;; [unrolled: 1-line block ×3, first 2 shown]
	v_mul_f64 v[196:197], v[228:229], s[22:23]
	v_fma_f64 v[238:239], v[192:193], s[16:17], v[196:197]
	v_add_f64 v[230:231], v[238:239], v[230:231]
	v_fma_f64 v[238:239], v[194:195], s[16:17], -v[198:199]
	v_add_f64 v[232:233], v[238:239], v[232:233]
	v_mul_f64 v[238:239], v[228:229], s[40:41]
	v_fma_f64 v[240:241], v[192:193], s[20:21], -v[238:239]
	v_fma_f64 v[238:239], v[192:193], s[20:21], v[238:239]
	v_add_f64 v[234:235], v[240:241], v[234:235]
	v_mul_f64 v[240:241], v[226:227], s[40:41]
	v_add_f64 v[238:239], v[238:239], v[200:201]
	v_fma_f64 v[200:201], v[194:195], s[20:21], -v[240:241]
	v_fma_f64 v[242:243], v[194:195], s[20:21], v[240:241]
	v_add_f64 v[240:241], v[200:201], v[202:203]
	v_mul_f64 v[200:201], v[228:229], s[30:31]
	v_add_f64 v[236:237], v[242:243], v[236:237]
	;; [unrolled: 5-line block ×6, first 2 shown]
	s_waitcnt vmcnt(0)
	v_add_f64 v[228:229], v[154:155], -v[168:169]
	v_fma_f64 v[202:203], v[192:193], s[18:19], -v[200:201]
	v_fma_f64 v[200:201], v[192:193], s[18:19], v[200:201]
	v_add_f64 v[220:221], v[202:203], v[220:221]
	v_mul_f64 v[202:203], v[226:227], s[24:25]
	v_add_f64 v[224:225], v[200:201], v[224:225]
	v_add_f64 v[226:227], v[150:151], -v[164:165]
	v_fma_f64 v[204:205], v[194:195], s[18:19], v[202:203]
	v_fma_f64 v[200:201], v[194:195], s[18:19], -v[202:203]
	v_add_f64 v[202:203], v[154:155], v[168:169]
	v_mul_f64 v[206:207], v[226:227], s[24:25]
	v_add_f64 v[222:223], v[204:205], v[222:223]
	v_add_f64 v[136:137], v[200:201], v[136:137]
	;; [unrolled: 1-line block ×3, first 2 shown]
	v_mul_f64 v[204:205], v[228:229], s[24:25]
	buffer_load_dword v150, off, s[44:47], 0 offset:1352 ; 4-byte Folded Reload
	buffer_load_dword v151, off, s[44:47], 0 offset:1356 ; 4-byte Folded Reload
	v_fma_f64 v[246:247], v[200:201], s[18:19], v[204:205]
	v_add_f64 v[230:231], v[246:247], v[230:231]
	v_fma_f64 v[246:247], v[202:203], s[18:19], -v[206:207]
	v_add_f64 v[232:233], v[246:247], v[232:233]
	v_mul_f64 v[246:247], v[228:229], s[36:37]
	v_fma_f64 v[248:249], v[200:201], s[16:17], -v[246:247]
	v_fma_f64 v[246:247], v[200:201], s[16:17], v[246:247]
	v_add_f64 v[234:235], v[248:249], v[234:235]
	v_mul_f64 v[248:249], v[226:227], s[36:37]
	v_add_f64 v[238:239], v[246:247], v[238:239]
	v_fma_f64 v[246:247], v[202:203], s[16:17], -v[248:249]
	v_fma_f64 v[250:251], v[202:203], s[16:17], v[248:249]
	v_add_f64 v[240:241], v[246:247], v[240:241]
	v_mul_f64 v[246:247], v[228:229], s[26:27]
	v_add_f64 v[236:237], v[250:251], v[236:237]
	;; [unrolled: 5-line block ×7, first 2 shown]
	s_waitcnt vmcnt(0)
	v_add_f64 v[226:227], v[172:173], -v[150:151]
	v_fma_f64 v[208:209], v[202:203], s[14:15], -v[210:211]
	v_fma_f64 v[212:213], v[202:203], s[14:15], v[210:211]
	v_add_f64 v[210:211], v[138:139], v[174:175]
	v_mul_f64 v[214:215], v[226:227], s[28:29]
	v_add_f64 v[136:137], v[208:209], v[136:137]
	v_add_f64 v[208:209], v[172:173], v[150:151]
	v_mov_b32_e32 v173, v139
	v_mov_b32_e32 v172, v138
	v_add_f64 v[228:229], v[172:173], -v[174:175]
	v_add_f64 v[222:223], v[212:213], v[222:223]
	v_mul_f64 v[212:213], v[228:229], s[28:29]
	v_fma_f64 v[138:139], v[208:209], s[20:21], v[212:213]
	v_add_f64 v[230:231], v[138:139], v[230:231]
	v_fma_f64 v[138:139], v[210:211], s[20:21], -v[214:215]
	v_add_f64 v[232:233], v[138:139], v[232:233]
	v_mul_f64 v[138:139], v[228:229], s[34:35]
	buffer_store_dword v230, off, s[44:47], 0 offset:20 ; 4-byte Folded Spill
	s_nop 0
	buffer_store_dword v231, off, s[44:47], 0 offset:24 ; 4-byte Folded Spill
	buffer_store_dword v232, off, s[44:47], 0 offset:28 ; 4-byte Folded Spill
	;; [unrolled: 1-line block ×3, first 2 shown]
	v_fma_f64 v[230:231], v[208:209], s[2:3], -v[138:139]
	v_fma_f64 v[138:139], v[208:209], s[2:3], v[138:139]
	v_add_f64 v[234:235], v[230:231], v[234:235]
	v_mul_f64 v[230:231], v[226:227], s[34:35]
	v_fma_f64 v[232:233], v[210:211], s[2:3], v[230:231]
	v_add_f64 v[236:237], v[232:233], v[236:237]
	v_add_f64 v[232:233], v[138:139], v[238:239]
	v_fma_f64 v[138:139], v[210:211], s[2:3], -v[230:231]
	buffer_store_dword v234, off, s[44:47], 0 offset:36 ; 4-byte Folded Spill
	s_nop 0
	buffer_store_dword v235, off, s[44:47], 0 offset:40 ; 4-byte Folded Spill
	buffer_store_dword v236, off, s[44:47], 0 offset:44 ; 4-byte Folded Spill
	;; [unrolled: 1-line block ×3, first 2 shown]
	v_add_f64 v[234:235], v[138:139], v[240:241]
	v_mul_f64 v[138:139], v[228:229], s[24:25]
	buffer_store_dword v232, off, s[44:47], 0 offset:52 ; 4-byte Folded Spill
	s_nop 0
	buffer_store_dword v233, off, s[44:47], 0 offset:56 ; 4-byte Folded Spill
	buffer_store_dword v234, off, s[44:47], 0 offset:60 ; 4-byte Folded Spill
	;; [unrolled: 1-line block ×3, first 2 shown]
	v_fma_f64 v[230:231], v[208:209], s[18:19], -v[138:139]
	v_fma_f64 v[138:139], v[208:209], s[18:19], v[138:139]
	v_add_f64 v[234:235], v[230:231], v[242:243]
	v_mul_f64 v[230:231], v[226:227], s[24:25]
	v_fma_f64 v[232:233], v[210:211], s[18:19], v[230:231]
	v_add_f64 v[236:237], v[232:233], v[244:245]
	v_add_f64 v[232:233], v[138:139], v[246:247]
	v_fma_f64 v[138:139], v[210:211], s[18:19], -v[230:231]
	buffer_store_dword v234, off, s[44:47], 0 offset:68 ; 4-byte Folded Spill
	s_nop 0
	buffer_store_dword v235, off, s[44:47], 0 offset:72 ; 4-byte Folded Spill
	buffer_store_dword v236, off, s[44:47], 0 offset:76 ; 4-byte Folded Spill
	;; [unrolled: 1-line block ×3, first 2 shown]
	v_add_f64 v[234:235], v[138:139], v[248:249]
	v_mul_f64 v[138:139], v[228:229], s[30:31]
	buffer_store_dword v232, off, s[44:47], 0 offset:84 ; 4-byte Folded Spill
	s_nop 0
	buffer_store_dword v233, off, s[44:47], 0 offset:88 ; 4-byte Folded Spill
	buffer_store_dword v234, off, s[44:47], 0 offset:92 ; 4-byte Folded Spill
	buffer_store_dword v235, off, s[44:47], 0 offset:96 ; 4-byte Folded Spill
	v_fma_f64 v[230:231], v[208:209], s[14:15], -v[138:139]
	v_fma_f64 v[138:139], v[208:209], s[14:15], v[138:139]
	v_add_f64 v[234:235], v[230:231], v[250:251]
	v_mul_f64 v[230:231], v[226:227], s[30:31]
	v_add_f64 v[216:217], v[138:139], v[216:217]
	v_fma_f64 v[232:233], v[210:211], s[14:15], v[230:231]
	v_fma_f64 v[138:139], v[210:211], s[14:15], -v[230:231]
	v_add_f64 v[236:237], v[232:233], v[252:253]
	v_add_f64 v[218:219], v[138:139], v[218:219]
	v_mul_f64 v[138:139], v[228:229], s[22:23]
	buffer_store_dword v234, off, s[44:47], 0 offset:100 ; 4-byte Folded Spill
	s_nop 0
	buffer_store_dword v235, off, s[44:47], 0 offset:104 ; 4-byte Folded Spill
	buffer_store_dword v236, off, s[44:47], 0 offset:108 ; 4-byte Folded Spill
	buffer_store_dword v237, off, s[44:47], 0 offset:112 ; 4-byte Folded Spill
	buffer_store_dword v216, off, s[44:47], 0 offset:116 ; 4-byte Folded Spill
	s_nop 0
	buffer_store_dword v217, off, s[44:47], 0 offset:120 ; 4-byte Folded Spill
	buffer_store_dword v218, off, s[44:47], 0 offset:124 ; 4-byte Folded Spill
	;; [unrolled: 1-line block ×3, first 2 shown]
	v_fma_f64 v[216:217], v[208:209], s[16:17], -v[138:139]
	v_fma_f64 v[138:139], v[208:209], s[16:17], v[138:139]
	v_add_f64 v[220:221], v[216:217], v[220:221]
	v_mul_f64 v[216:217], v[226:227], s[22:23]
	v_fma_f64 v[218:219], v[210:211], s[16:17], v[216:217]
	v_add_f64 v[222:223], v[218:219], v[222:223]
	v_add_f64 v[218:219], v[138:139], v[224:225]
	v_fma_f64 v[138:139], v[210:211], s[16:17], -v[216:217]
	buffer_store_dword v220, off, s[44:47], 0 offset:132 ; 4-byte Folded Spill
	s_nop 0
	buffer_store_dword v221, off, s[44:47], 0 offset:136 ; 4-byte Folded Spill
	buffer_store_dword v222, off, s[44:47], 0 offset:140 ; 4-byte Folded Spill
	;; [unrolled: 1-line block ×3, first 2 shown]
	v_add_f64 v[220:221], v[138:139], v[136:137]
	buffer_store_dword v218, off, s[44:47], 0 offset:148 ; 4-byte Folded Spill
	s_nop 0
	buffer_store_dword v219, off, s[44:47], 0 offset:152 ; 4-byte Folded Spill
	buffer_store_dword v220, off, s[44:47], 0 offset:156 ; 4-byte Folded Spill
	;; [unrolled: 1-line block ×3, first 2 shown]
	s_waitcnt lgkmcnt(0)
	; wave barrier
	buffer_load_dword v136, off, s[44:47], 0 offset:1240 ; 4-byte Folded Reload
	buffer_load_dword v137, off, s[44:47], 0 offset:1256 ; 4-byte Folded Reload
	s_waitcnt vmcnt(1)
	v_mul_u32_u24_e32 v136, 0x4d, v136
	s_waitcnt vmcnt(0)
	v_add_lshl_u32 v252, v136, v137, 4
	buffer_load_dword v136, off, s[44:47], 0 offset:1336 ; 4-byte Folded Reload
	buffer_load_dword v137, off, s[44:47], 0 offset:1340 ; 4-byte Folded Reload
	;; [unrolled: 1-line block ×4, first 2 shown]
	s_waitcnt vmcnt(0)
	ds_write_b128 v252, v[136:139]
	ds_write_b128 v252, v[16:19] offset:112
	ds_write_b128 v252, v[48:51] offset:224
	ds_write_b128 v252, v[52:55] offset:336
	ds_write_b128 v252, v[60:63] offset:448
	ds_write_b128 v252, v[68:71] offset:560
	ds_write_b128 v252, v[72:75] offset:672
	ds_write_b128 v252, v[64:67] offset:784
	ds_write_b128 v252, v[56:59] offset:896
	ds_write_b128 v252, v[4:7] offset:1008
	ds_write_b128 v252, v[12:15] offset:1120
	buffer_load_dword v4, off, s[44:47], 0 offset:1272 ; 4-byte Folded Reload
	buffer_load_dword v5, off, s[44:47], 0 offset:1288 ; 4-byte Folded Reload
	s_waitcnt vmcnt(1)
	v_mul_u32_u24_e32 v4, 0x4d, v4
	s_waitcnt vmcnt(0)
	v_add_lshl_u32 v253, v4, v5, 4
	ds_write_b128 v253, v[76:79]
	ds_write_b128 v253, v[84:87] offset:112
	ds_write_b128 v253, v[92:95] offset:224
	;; [unrolled: 1-line block ×10, first 2 shown]
	buffer_load_dword v4, off, s[44:47], 0 offset:1320 ; 4-byte Folded Reload
	s_waitcnt vmcnt(0)
	v_mul_u32_u24_e32 v4, 0x4d, v4
	v_add_lshl_u32 v255, v4, v255, 4
	ds_write_b128 v255, v[116:119]
	ds_write_b128 v255, v[24:27] offset:112
	ds_write_b128 v255, v[32:35] offset:224
	;; [unrolled: 1-line block ×10, first 2 shown]
	s_and_saveexec_b64 s[22:23], s[0:1]
	s_cbranch_execz .LBB0_5
; %bb.4:
	v_add_f64 v[6:7], v[0:1], v[140:141]
	v_mul_f64 v[10:11], v[176:177], s[2:3]
	v_mul_f64 v[8:9], v[178:179], s[2:3]
	;; [unrolled: 1-line block ×5, first 2 shown]
	v_add_f64 v[4:5], v[2:3], v[156:157]
	v_mul_f64 v[18:19], v[194:195], s[16:17]
	v_add_f64 v[6:7], v[6:7], v[142:143]
	v_add_f64 v[10:11], v[10:11], -v[180:181]
	v_add_f64 v[8:9], v[182:183], v[8:9]
	v_add_f64 v[14:15], v[14:15], -v[188:189]
	v_add_f64 v[16:17], v[16:17], -v[196:197]
	v_add_f64 v[12:13], v[190:191], v[12:13]
	v_add_f64 v[4:5], v[4:5], v[146:147]
	;; [unrolled: 1-line block ×6, first 2 shown]
	v_mul_f64 v[8:9], v[200:201], s[18:19]
	v_mul_f64 v[10:11], v[202:203], s[18:19]
	v_add_f64 v[4:5], v[4:5], v[152:153]
	v_add_f64 v[6:7], v[6:7], v[148:149]
	;; [unrolled: 1-line block ×4, first 2 shown]
	v_add_f64 v[8:9], v[8:9], -v[204:205]
	v_add_f64 v[10:11], v[206:207], v[10:11]
	v_mul_f64 v[12:13], v[208:209], s[20:21]
	v_mul_f64 v[14:15], v[210:211], s[20:21]
	v_add_f64 v[4:5], v[4:5], v[154:155]
	v_add_f64 v[6:7], v[6:7], v[170:171]
	;; [unrolled: 1-line block ×4, first 2 shown]
	v_add_f64 v[12:13], v[12:13], -v[212:213]
	v_add_f64 v[14:15], v[214:215], v[14:15]
	v_add_f64 v[4:5], v[4:5], v[172:173]
	;; [unrolled: 1-line block ×13, first 2 shown]
	buffer_load_dword v6, off, s[44:47], 0 offset:732 ; 4-byte Folded Reload
	buffer_load_dword v7, off, s[44:47], 0 offset:736 ; 4-byte Folded Reload
	;; [unrolled: 1-line block ×6, first 2 shown]
	v_add_f64 v[4:5], v[4:5], v[46:47]
	s_waitcnt vmcnt(5)
	v_mul_u32_u24_e32 v6, 0x4d, v6
	s_waitcnt vmcnt(4)
	v_add_lshl_u32 v10, v6, v7, 4
	s_waitcnt vmcnt(0)
	ds_write_b128 v10, v[16:19] offset:224
	buffer_load_dword v16, off, s[44:47], 0 offset:68 ; 4-byte Folded Reload
	buffer_load_dword v17, off, s[44:47], 0 offset:72 ; 4-byte Folded Reload
	;; [unrolled: 1-line block ×4, first 2 shown]
	v_add_f64 v[6:7], v[4:5], v[162:163]
	v_add_f64 v[4:5], v[8:9], v[158:159]
	s_waitcnt vmcnt(0)
	ds_write_b128 v10, v[16:19] offset:336
	buffer_load_dword v11, off, s[44:47], 0 offset:100 ; 4-byte Folded Reload
	buffer_load_dword v12, off, s[44:47], 0 offset:104 ; 4-byte Folded Reload
	buffer_load_dword v13, off, s[44:47], 0 offset:108 ; 4-byte Folded Reload
	buffer_load_dword v14, off, s[44:47], 0 offset:112 ; 4-byte Folded Reload
	s_waitcnt vmcnt(0)
	ds_write_b128 v10, v[11:14] offset:448
	buffer_load_dword v11, off, s[44:47], 0 offset:132 ; 4-byte Folded Reload
	buffer_load_dword v12, off, s[44:47], 0 offset:136 ; 4-byte Folded Reload
	buffer_load_dword v13, off, s[44:47], 0 offset:140 ; 4-byte Folded Reload
	buffer_load_dword v14, off, s[44:47], 0 offset:144 ; 4-byte Folded Reload
	;; [unrolled: 6-line block ×6, first 2 shown]
	s_waitcnt vmcnt(0)
	ds_write_b128 v10, v[11:14] offset:1008
	ds_write_b128 v10, v[0:3] offset:112
	ds_write_b128 v10, v[4:7]
	buffer_load_dword v0, off, s[44:47], 0 offset:20 ; 4-byte Folded Reload
	buffer_load_dword v1, off, s[44:47], 0 offset:24 ; 4-byte Folded Reload
	;; [unrolled: 1-line block ×4, first 2 shown]
	s_waitcnt vmcnt(0)
	ds_write_b128 v10, v[0:3] offset:1120
.LBB0_5:
	s_or_b64 exec, exec, s[22:23]
	buffer_load_dword v214, off, s[44:47], 0 ; 4-byte Folded Reload
	s_movk_i32 s2, 0x14a
	s_waitcnt lgkmcnt(0)
	; wave barrier
	s_waitcnt lgkmcnt(0)
	v_mov_b32_e32 v205, s11
	s_mov_b32 s14, 0x134454ff
	s_mov_b32 s15, 0x3fee6f0e
	;; [unrolled: 1-line block ×5, first 2 shown]
	s_movk_i32 s20, 0x17a0
	s_mov_b32 s24, 0xb247c609
	s_mov_b32 s22, 0x37c3f68c
	;; [unrolled: 1-line block ×7, first 2 shown]
	s_waitcnt vmcnt(0)
	v_add_co_u32_e32 v204, vcc, 0x113, v214
	v_add_co_u32_e32 v139, vcc, s2, v214
	v_lshlrev_b32_e32 v0, 4, v214
	v_add_co_u32_e32 v208, vcc, s8, v0
	v_mov_b32_e32 v0, s9
	v_lshlrev_b32_e32 v136, 6, v214
	v_addc_co_u32_e32 v209, vcc, 0, v0, vcc
	ds_read_b128 v[32:35], v254
	ds_read_b128 v[124:127], v254 offset:6160
	ds_read_b128 v[128:131], v254 offset:12320
	;; [unrolled: 1-line block ×34, first 2 shown]
	global_load_dwordx4 v[148:151], v136, s[10:11] offset:1168
	global_load_dwordx4 v[156:159], v136, s[10:11] offset:1152
	;; [unrolled: 1-line block ×4, first 2 shown]
	v_add_co_u32_e32 v200, vcc, s10, v136
	v_addc_co_u32_e32 v201, vcc, 0, v205, vcc
	s_movk_i32 s2, 0xffea
	s_mov_b32 s8, 0x372fe950
	s_mov_b32 s9, 0x3fd3c6ef
	s_waitcnt vmcnt(0) lgkmcnt(14)
	v_mul_f64 v[136:137], v[126:127], v[154:155]
	v_fma_f64 v[142:143], v[124:125], v[152:153], -v[136:137]
	v_mul_f64 v[124:125], v[124:125], v[154:155]
	buffer_store_dword v152, off, s[44:47], 0 offset:1288 ; 4-byte Folded Spill
	s_nop 0
	buffer_store_dword v153, off, s[44:47], 0 offset:1292 ; 4-byte Folded Spill
	buffer_store_dword v154, off, s[44:47], 0 offset:1296 ; 4-byte Folded Spill
	buffer_store_dword v155, off, s[44:47], 0 offset:1300 ; 4-byte Folded Spill
	v_fma_f64 v[154:155], v[126:127], v[152:153], v[124:125]
	v_mul_f64 v[124:125], v[130:131], v[162:163]
	v_fma_f64 v[194:195], v[128:129], v[160:161], -v[124:125]
	v_mul_f64 v[124:125], v[128:129], v[162:163]
	buffer_store_dword v160, off, s[44:47], 0 offset:1272 ; 4-byte Folded Spill
	s_nop 0
	buffer_store_dword v161, off, s[44:47], 0 offset:1276 ; 4-byte Folded Spill
	buffer_store_dword v162, off, s[44:47], 0 offset:1280 ; 4-byte Folded Spill
	buffer_store_dword v163, off, s[44:47], 0 offset:1284 ; 4-byte Folded Spill
	v_fma_f64 v[180:181], v[130:131], v[160:161], v[124:125]
	;; [unrolled: 9-line block ×3, first 2 shown]
	v_mul_f64 v[124:125], v[146:147], v[150:151]
	v_fma_f64 v[198:199], v[144:145], v[148:149], -v[124:125]
	v_mul_f64 v[124:125], v[144:145], v[150:151]
	buffer_store_dword v148, off, s[44:47], 0 offset:1240 ; 4-byte Folded Spill
	s_nop 0
	buffer_store_dword v149, off, s[44:47], 0 offset:1244 ; 4-byte Folded Spill
	buffer_store_dword v150, off, s[44:47], 0 offset:1248 ; 4-byte Folded Spill
	;; [unrolled: 1-line block ×3, first 2 shown]
	buffer_load_dword v126, off, s[44:47], 0 offset:1304 ; 4-byte Folded Reload
	buffer_load_dword v215, off, s[44:47], 0 offset:1496 ; 4-byte Folded Reload
	v_fma_f64 v[184:185], v[146:147], v[148:149], v[124:125]
	v_add_co_u32_e32 v124, vcc, s2, v214
	v_addc_co_u32_e64 v125, s[2:3], 0, -1, vcc
	v_cmp_gt_u16_e32 vcc, 22, v214
	s_waitcnt vmcnt(1)
	v_cndmask_b32_e32 v125, v125, v126, vcc
	s_waitcnt vmcnt(0)
	v_cndmask_b32_e32 v124, v124, v215, vcc
	v_lshlrev_b64 v[125:126], 6, v[124:125]
	s_movk_i32 s2, 0xd5
	v_add_co_u32_e32 v125, vcc, s10, v125
	v_addc_co_u32_e32 v126, vcc, v205, v126, vcc
	global_load_dwordx4 v[127:130], v[125:126], off offset:1168
	global_load_dwordx4 v[131:134], v[125:126], off offset:1152
	;; [unrolled: 1-line block ×4, first 2 shown]
	s_waitcnt vmcnt(0)
	v_mul_f64 v[125:126], v[122:123], v[146:147]
	v_fma_f64 v[186:187], v[120:121], v[144:145], -v[125:126]
	v_mul_f64 v[120:121], v[120:121], v[146:147]
	buffer_store_dword v144, off, s[44:47], 0 offset:1352 ; 4-byte Folded Spill
	s_nop 0
	buffer_store_dword v145, off, s[44:47], 0 offset:1356 ; 4-byte Folded Spill
	buffer_store_dword v146, off, s[44:47], 0 offset:1360 ; 4-byte Folded Spill
	buffer_store_dword v147, off, s[44:47], 0 offset:1364 ; 4-byte Folded Spill
	v_fma_f64 v[164:165], v[122:123], v[144:145], v[120:121]
	v_mul_f64 v[120:121], v[118:119], v[137:138]
	v_fma_f64 v[188:189], v[116:117], v[135:136], -v[120:121]
	v_mul_f64 v[116:117], v[116:117], v[137:138]
	buffer_store_dword v135, off, s[44:47], 0 offset:1336 ; 4-byte Folded Spill
	s_nop 0
	buffer_store_dword v136, off, s[44:47], 0 offset:1340 ; 4-byte Folded Spill
	buffer_store_dword v137, off, s[44:47], 0 offset:1344 ; 4-byte Folded Spill
	buffer_store_dword v138, off, s[44:47], 0 offset:1348 ; 4-byte Folded Spill
	v_fma_f64 v[166:167], v[118:119], v[135:136], v[116:117]
	;; [unrolled: 9-line block ×3, first 2 shown]
	v_mul_f64 v[112:113], v[110:111], v[129:130]
	v_fma_f64 v[192:193], v[108:109], v[127:128], -v[112:113]
	v_mul_f64 v[108:109], v[108:109], v[129:130]
	buffer_store_dword v127, off, s[44:47], 0 offset:1304 ; 4-byte Folded Spill
	s_nop 0
	buffer_store_dword v128, off, s[44:47], 0 offset:1308 ; 4-byte Folded Spill
	buffer_store_dword v129, off, s[44:47], 0 offset:1312 ; 4-byte Folded Spill
	;; [unrolled: 1-line block ×3, first 2 shown]
	buffer_load_dword v216, off, s[44:47], 0 offset:1644 ; 4-byte Folded Reload
	v_fma_f64 v[170:171], v[110:111], v[127:128], v[108:109]
	s_waitcnt vmcnt(0)
	v_mul_lo_u16_sdwa v108, v216, s2 dst_sel:DWORD dst_unused:UNUSED_PAD src0_sel:BYTE_0 src1_sel:DWORD
	v_lshrrev_b16_e32 v202, 14, v108
	v_mul_lo_u16_e32 v108, 0x4d, v202
	v_sub_u16_e32 v108, v216, v108
	v_and_b32_e32 v206, 0xff, v108
	v_lshlrev_b32_e32 v108, 6, v206
	global_load_dwordx4 v[110:113], v108, s[10:11] offset:1168
	global_load_dwordx4 v[114:117], v108, s[10:11] offset:1152
	;; [unrolled: 1-line block ×4, first 2 shown]
	s_waitcnt vmcnt(0)
	v_mul_f64 v[108:109], v[106:107], v[127:128]
	v_fma_f64 v[172:173], v[104:105], v[125:126], -v[108:109]
	v_mul_f64 v[104:105], v[104:105], v[127:128]
	buffer_store_dword v125, off, s[44:47], 0 offset:1416 ; 4-byte Folded Spill
	s_nop 0
	buffer_store_dword v126, off, s[44:47], 0 offset:1420 ; 4-byte Folded Spill
	buffer_store_dword v127, off, s[44:47], 0 offset:1424 ; 4-byte Folded Spill
	buffer_store_dword v128, off, s[44:47], 0 offset:1428 ; 4-byte Folded Spill
	v_fma_f64 v[148:149], v[106:107], v[125:126], v[104:105]
	v_mul_f64 v[104:105], v[102:103], v[120:121]
	v_fma_f64 v[174:175], v[100:101], v[118:119], -v[104:105]
	v_mul_f64 v[100:101], v[100:101], v[120:121]
	buffer_store_dword v118, off, s[44:47], 0 offset:1400 ; 4-byte Folded Spill
	s_nop 0
	buffer_store_dword v119, off, s[44:47], 0 offset:1404 ; 4-byte Folded Spill
	buffer_store_dword v120, off, s[44:47], 0 offset:1408 ; 4-byte Folded Spill
	buffer_store_dword v121, off, s[44:47], 0 offset:1412 ; 4-byte Folded Spill
	v_fma_f64 v[150:151], v[102:103], v[118:119], v[100:101]
	;; [unrolled: 9-line block ×3, first 2 shown]
	v_mul_f64 v[98:99], v[94:95], v[112:113]
	v_fma_f64 v[178:179], v[92:93], v[110:111], -v[98:99]
	v_mul_f64 v[92:93], v[92:93], v[112:113]
	buffer_store_dword v110, off, s[44:47], 0 offset:1368 ; 4-byte Folded Spill
	s_nop 0
	buffer_store_dword v111, off, s[44:47], 0 offset:1372 ; 4-byte Folded Spill
	buffer_store_dword v112, off, s[44:47], 0 offset:1376 ; 4-byte Folded Spill
	;; [unrolled: 1-line block ×3, first 2 shown]
	buffer_load_dword v217, off, s[44:47], 0 offset:4 ; 4-byte Folded Reload
	v_fma_f64 v[92:93], v[94:95], v[110:111], v[92:93]
	s_waitcnt vmcnt(0)
	v_mul_lo_u16_sdwa v94, v217, s2 dst_sel:DWORD dst_unused:UNUSED_PAD src0_sel:BYTE_0 src1_sel:DWORD
	v_lshrrev_b16_e32 v94, 14, v94
	v_mul_lo_u16_e32 v94, 0x4d, v94
	v_sub_u16_e32 v203, v217, v94
	v_mov_b32_e32 v94, 6
	v_lshlrev_b32_sdwa v94, v94, v203 dst_sel:DWORD dst_unused:UNUSED_PAD src0_sel:DWORD src1_sel:BYTE_0
	global_load_dwordx4 v[98:101], v94, s[10:11] offset:1168
	global_load_dwordx4 v[102:105], v94, s[10:11] offset:1152
	;; [unrolled: 1-line block ×4, first 2 shown]
	s_movk_i32 s2, 0x1a99
	s_movk_i32 s11, 0x181
	s_waitcnt vmcnt(0)
	v_mul_f64 v[94:95], v[90:91], v[112:113]
	v_fma_f64 v[156:157], v[88:89], v[110:111], -v[94:95]
	v_mul_f64 v[88:89], v[88:89], v[112:113]
	buffer_store_dword v110, off, s[44:47], 0 offset:1480 ; 4-byte Folded Spill
	s_nop 0
	buffer_store_dword v111, off, s[44:47], 0 offset:1484 ; 4-byte Folded Spill
	buffer_store_dword v112, off, s[44:47], 0 offset:1488 ; 4-byte Folded Spill
	buffer_store_dword v113, off, s[44:47], 0 offset:1492 ; 4-byte Folded Spill
	v_fma_f64 v[88:89], v[90:91], v[110:111], v[88:89]
	v_mul_f64 v[90:91], v[86:87], v[108:109]
	v_fma_f64 v[158:159], v[84:85], v[106:107], -v[90:91]
	v_mul_f64 v[84:85], v[84:85], v[108:109]
	buffer_store_dword v106, off, s[44:47], 0 offset:1464 ; 4-byte Folded Spill
	s_nop 0
	buffer_store_dword v107, off, s[44:47], 0 offset:1468 ; 4-byte Folded Spill
	buffer_store_dword v108, off, s[44:47], 0 offset:1472 ; 4-byte Folded Spill
	buffer_store_dword v109, off, s[44:47], 0 offset:1476 ; 4-byte Folded Spill
	v_fma_f64 v[84:85], v[86:87], v[106:107], v[84:85]
	;; [unrolled: 9-line block ×3, first 2 shown]
	v_mul_f64 v[80:81], v[78:79], v[100:101]
	v_fma_f64 v[162:163], v[76:77], v[98:99], -v[80:81]
	v_mul_f64 v[76:77], v[76:77], v[100:101]
	buffer_store_dword v98, off, s[44:47], 0 offset:1432 ; 4-byte Folded Spill
	s_nop 0
	buffer_store_dword v99, off, s[44:47], 0 offset:1436 ; 4-byte Folded Spill
	buffer_store_dword v100, off, s[44:47], 0 offset:1440 ; 4-byte Folded Spill
	buffer_store_dword v101, off, s[44:47], 0 offset:1444 ; 4-byte Folded Spill
	buffer_load_dword v220, off, s[44:47], 0 offset:1624 ; 4-byte Folded Reload
	v_fma_f64 v[86:87], v[78:79], v[98:99], v[76:77]
	s_waitcnt vmcnt(0)
	v_mul_u32_u24_sdwa v76, v220, s2 dst_sel:DWORD dst_unused:UNUSED_PAD src0_sel:WORD_0 src1_sel:DWORD
	v_lshrrev_b32_e32 v207, 19, v76
	v_mul_lo_u16_e32 v76, 0x4d, v207
	v_sub_u16_e32 v210, v220, v76
	v_lshlrev_b16_e32 v76, 6, v210
	v_add_co_u32_e32 v76, vcc, s10, v76
	v_addc_co_u32_e32 v77, vcc, 0, v205, vcc
	global_load_dwordx4 v[78:81], v[76:77], off offset:1168
	global_load_dwordx4 v[102:105], v[76:77], off offset:1152
	;; [unrolled: 1-line block ×4, first 2 shown]
	s_waitcnt vmcnt(0) lgkmcnt(13)
	v_mul_f64 v[76:77], v[74:75], v[100:101]
	v_fma_f64 v[90:91], v[72:73], v[98:99], -v[76:77]
	v_mul_f64 v[72:73], v[72:73], v[100:101]
	buffer_store_dword v98, off, s[44:47], 0 offset:1560 ; 4-byte Folded Spill
	s_nop 0
	buffer_store_dword v99, off, s[44:47], 0 offset:1564 ; 4-byte Folded Spill
	buffer_store_dword v100, off, s[44:47], 0 offset:1568 ; 4-byte Folded Spill
	buffer_store_dword v101, off, s[44:47], 0 offset:1572 ; 4-byte Folded Spill
	v_fma_f64 v[98:99], v[74:75], v[98:99], v[72:73]
	s_waitcnt lgkmcnt(12)
	v_mul_f64 v[72:73], v[70:71], v[108:109]
	v_fma_f64 v[94:95], v[68:69], v[106:107], -v[72:73]
	v_mul_f64 v[68:69], v[68:69], v[108:109]
	buffer_store_dword v106, off, s[44:47], 0 offset:1544 ; 4-byte Folded Spill
	s_nop 0
	buffer_store_dword v107, off, s[44:47], 0 offset:1548 ; 4-byte Folded Spill
	buffer_store_dword v108, off, s[44:47], 0 offset:1552 ; 4-byte Folded Spill
	buffer_store_dword v109, off, s[44:47], 0 offset:1556 ; 4-byte Folded Spill
	v_fma_f64 v[100:101], v[70:71], v[106:107], v[68:69]
	s_waitcnt lgkmcnt(11)
	;; [unrolled: 10-line block ×3, first 2 shown]
	v_mul_f64 v[64:65], v[62:63], v[80:81]
	v_fma_f64 v[112:113], v[60:61], v[78:79], -v[64:65]
	v_mul_f64 v[60:61], v[60:61], v[80:81]
	buffer_store_dword v78, off, s[44:47], 0 offset:1512 ; 4-byte Folded Spill
	s_nop 0
	buffer_store_dword v79, off, s[44:47], 0 offset:1516 ; 4-byte Folded Spill
	buffer_store_dword v80, off, s[44:47], 0 offset:1520 ; 4-byte Folded Spill
	;; [unrolled: 1-line block ×3, first 2 shown]
	v_add_f64 v[80:81], v[162:163], -v[160:161]
	v_fma_f64 v[104:105], v[62:63], v[78:79], v[60:61]
	v_mul_u32_u24_sdwa v60, v204, s2 dst_sel:DWORD dst_unused:UNUSED_PAD src0_sel:WORD_0 src1_sel:DWORD
	v_lshrrev_b32_e32 v211, 19, v60
	v_mul_lo_u16_e32 v60, 0x4d, v211
	v_sub_u16_e32 v212, v204, v60
	v_lshlrev_b16_e32 v60, 6, v212
	v_add_co_u32_e32 v60, vcc, s10, v60
	v_addc_co_u32_e32 v61, vcc, 0, v205, vcc
	global_load_dwordx4 v[62:65], v[60:61], off offset:1168
	global_load_dwordx4 v[66:69], v[60:61], off offset:1152
	;; [unrolled: 1-line block ×4, first 2 shown]
	v_add_f64 v[78:79], v[84:85], -v[82:83]
	s_waitcnt vmcnt(0) lgkmcnt(8)
	v_mul_f64 v[60:61], v[58:59], v[76:77]
	v_fma_f64 v[106:107], v[56:57], v[74:75], -v[60:61]
	v_mul_f64 v[56:57], v[56:57], v[76:77]
	buffer_store_dword v74, off, s[44:47], 0 offset:1628 ; 4-byte Folded Spill
	s_nop 0
	buffer_store_dword v75, off, s[44:47], 0 offset:1632 ; 4-byte Folded Spill
	buffer_store_dword v76, off, s[44:47], 0 offset:1636 ; 4-byte Folded Spill
	;; [unrolled: 1-line block ×3, first 2 shown]
	v_add_f64 v[76:77], v[156:157], -v[158:159]
	v_add_f64 v[80:81], v[76:77], v[80:81]
	v_fma_f64 v[114:115], v[58:59], v[74:75], v[56:57]
	s_waitcnt lgkmcnt(7)
	v_mul_f64 v[56:57], v[54:55], v[72:73]
	v_add_f64 v[74:75], v[96:97], -v[92:93]
	v_fma_f64 v[110:111], v[52:53], v[70:71], -v[56:57]
	v_mul_f64 v[52:53], v[52:53], v[72:73]
	buffer_store_dword v70, off, s[44:47], 0 offset:1608 ; 4-byte Folded Spill
	s_nop 0
	buffer_store_dword v71, off, s[44:47], 0 offset:1612 ; 4-byte Folded Spill
	buffer_store_dword v72, off, s[44:47], 0 offset:1616 ; 4-byte Folded Spill
	buffer_store_dword v73, off, s[44:47], 0 offset:1620 ; 4-byte Folded Spill
	v_add_f64 v[72:73], v[92:93], -v[96:97]
	v_fma_f64 v[116:117], v[54:55], v[70:71], v[52:53]
	s_waitcnt lgkmcnt(6)
	v_mul_f64 v[52:53], v[50:51], v[68:69]
	v_add_f64 v[70:71], v[174:175], -v[176:177]
	v_fma_f64 v[131:132], v[48:49], v[66:67], -v[52:53]
	v_mul_f64 v[48:49], v[48:49], v[68:69]
	buffer_store_dword v66, off, s[44:47], 0 offset:1592 ; 4-byte Folded Spill
	s_nop 0
	buffer_store_dword v67, off, s[44:47], 0 offset:1596 ; 4-byte Folded Spill
	buffer_store_dword v68, off, s[44:47], 0 offset:1600 ; 4-byte Folded Spill
	buffer_store_dword v69, off, s[44:47], 0 offset:1604 ; 4-byte Folded Spill
	v_add_f64 v[68:69], v[172:173], -v[178:179]
	;; [unrolled: 12-line block ×3, first 2 shown]
	v_fma_f64 v[120:121], v[46:47], v[62:63], v[44:45]
	v_mul_u32_u24_sdwa v44, v139, s2 dst_sel:DWORD dst_unused:UNUSED_PAD src0_sel:WORD_0 src1_sel:DWORD
	v_lshrrev_b32_e32 v44, 19, v44
	v_mul_lo_u16_e32 v44, 0x4d, v44
	v_sub_u16_e32 v213, v139, v44
	v_lshlrev_b16_e32 v44, 6, v213
	v_add_co_u32_e32 v44, vcc, s10, v44
	v_addc_co_u32_e32 v45, vcc, 0, v205, vcc
	global_load_dwordx4 v[46:49], v[44:45], off offset:1168
	global_load_dwordx4 v[50:53], v[44:45], off offset:1152
	global_load_dwordx4 v[54:57], v[44:45], off offset:1136
	global_load_dwordx4 v[58:61], v[44:45], off offset:1120
	s_mov_b32 s2, 0x4755a5e
	s_mov_b32 s3, 0x3fe2cf23
	;; [unrolled: 1-line block ×3, first 2 shown]
	v_add_f64 v[62:63], v[150:151], -v[96:97]
	v_cmp_lt_u16_e32 vcc, 21, v214
	s_waitcnt vmcnt(0) lgkmcnt(3)
	v_mul_f64 v[44:45], v[42:43], v[60:61]
	v_fma_f64 v[135:136], v[40:41], v[58:59], -v[44:45]
	v_mul_f64 v[40:41], v[40:41], v[60:61]
	buffer_store_dword v58, off, s[44:47], 0 offset:1708 ; 4-byte Folded Spill
	s_nop 0
	buffer_store_dword v59, off, s[44:47], 0 offset:1712 ; 4-byte Folded Spill
	buffer_store_dword v60, off, s[44:47], 0 offset:1716 ; 4-byte Folded Spill
	;; [unrolled: 1-line block ×3, first 2 shown]
	v_add_f64 v[44:45], v[184:185], -v[182:183]
	v_add_f64 v[60:61], v[172:173], -v[174:175]
	v_add_f64 v[64:65], v[60:61], v[64:65]
	v_fma_f64 v[122:123], v[42:43], v[58:59], v[40:41]
	s_waitcnt lgkmcnt(2)
	v_mul_f64 v[40:41], v[38:39], v[56:57]
	v_add_f64 v[42:43], v[154:155], -v[180:181]
	v_add_f64 v[58:59], v[168:169], -v[170:171]
	v_fma_f64 v[137:138], v[36:37], v[54:55], -v[40:41]
	v_mul_f64 v[36:37], v[36:37], v[56:57]
	buffer_store_dword v54, off, s[44:47], 0 offset:1692 ; 4-byte Folded Spill
	s_nop 0
	buffer_store_dword v55, off, s[44:47], 0 offset:1696 ; 4-byte Folded Spill
	buffer_store_dword v56, off, s[44:47], 0 offset:1700 ; 4-byte Folded Spill
	;; [unrolled: 1-line block ×3, first 2 shown]
	v_add_f64 v[40:41], v[198:199], -v[196:197]
	v_add_f64 v[42:43], v[42:43], v[44:45]
	v_add_f64 v[44:45], v[182:183], -v[184:185]
	v_add_f64 v[56:57], v[170:171], -v[168:169]
	v_fma_f64 v[125:126], v[38:39], v[54:55], v[36:37]
	s_waitcnt lgkmcnt(1)
	v_mul_f64 v[36:37], v[30:31], v[52:53]
	v_add_f64 v[38:39], v[142:143], -v[194:195]
	v_add_f64 v[54:55], v[188:189], -v[190:191]
	v_fma_f64 v[144:145], v[28:29], v[50:51], -v[36:37]
	v_mul_f64 v[28:29], v[28:29], v[52:53]
	buffer_store_dword v50, off, s[44:47], 0 offset:1676 ; 4-byte Folded Spill
	s_nop 0
	buffer_store_dword v51, off, s[44:47], 0 offset:1680 ; 4-byte Folded Spill
	buffer_store_dword v52, off, s[44:47], 0 offset:1684 ; 4-byte Folded Spill
	;; [unrolled: 1-line block ×3, first 2 shown]
	v_add_f64 v[36:37], v[180:181], -v[182:183]
	v_add_f64 v[38:39], v[38:39], v[40:41]
	v_add_f64 v[40:41], v[196:197], -v[198:199]
	v_add_f64 v[52:53], v[186:187], -v[192:193]
	v_fma_f64 v[127:128], v[30:31], v[50:51], v[28:29]
	s_waitcnt lgkmcnt(0)
	v_mul_f64 v[28:29], v[26:27], v[48:49]
	v_add_f64 v[30:31], v[154:155], -v[184:185]
	v_add_f64 v[50:51], v[190:191], -v[192:193]
	v_fma_f64 v[146:147], v[24:25], v[46:47], -v[28:29]
	v_mul_f64 v[24:25], v[24:25], v[48:49]
	buffer_store_dword v46, off, s[44:47], 0 offset:1660 ; 4-byte Folded Spill
	s_nop 0
	buffer_store_dword v47, off, s[44:47], 0 offset:1664 ; 4-byte Folded Spill
	buffer_store_dword v48, off, s[44:47], 0 offset:1668 ; 4-byte Folded Spill
	;; [unrolled: 1-line block ×3, first 2 shown]
	v_add_f64 v[48:49], v[192:193], -v[190:191]
	s_waitcnt lgkmcnt(0)
	; wave barrier
	v_fma_f64 v[129:130], v[26:27], v[46:47], v[24:25]
	v_add_f64 v[26:27], v[194:195], v[196:197]
	v_add_f64 v[24:25], v[32:33], v[142:143]
	v_add_f64 v[46:47], v[166:167], -v[168:169]
	v_fma_f64 v[26:27], v[26:27], -0.5, v[32:33]
	v_add_f64 v[24:25], v[24:25], v[194:195]
	v_fma_f64 v[28:29], v[30:31], s[14:15], v[26:27]
	v_fma_f64 v[26:27], v[30:31], s[16:17], v[26:27]
	v_add_f64 v[24:25], v[24:25], v[196:197]
	v_fma_f64 v[28:29], v[36:37], s[2:3], v[28:29]
	v_fma_f64 v[26:27], v[36:37], s[18:19], v[26:27]
	;; [unrolled: 3-line block ×3, first 2 shown]
	v_add_f64 v[26:27], v[142:143], v[198:199]
	v_add_f64 v[38:39], v[194:195], -v[142:143]
	v_fma_f64 v[26:27], v[26:27], -0.5, v[32:33]
	v_add_f64 v[38:39], v[38:39], v[40:41]
	v_add_f64 v[40:41], v[194:195], -v[196:197]
	v_fma_f64 v[32:33], v[36:37], s[16:17], v[26:27]
	v_fma_f64 v[26:27], v[36:37], s[14:15], v[26:27]
	v_add_f64 v[36:37], v[142:143], -v[198:199]
	v_fma_f64 v[32:33], v[30:31], s[2:3], v[32:33]
	v_fma_f64 v[26:27], v[30:31], s[18:19], v[26:27]
	v_add_f64 v[30:31], v[180:181], v[182:183]
	v_fma_f64 v[32:33], v[38:39], s[8:9], v[32:33]
	v_fma_f64 v[152:153], v[38:39], s[8:9], v[26:27]
	v_fma_f64 v[30:31], v[30:31], -0.5, v[34:35]
	v_add_f64 v[26:27], v[34:35], v[154:155]
	v_fma_f64 v[38:39], v[36:37], s[16:17], v[30:31]
	v_fma_f64 v[30:31], v[36:37], s[14:15], v[30:31]
	v_add_f64 v[26:27], v[26:27], v[180:181]
	v_fma_f64 v[38:39], v[40:41], s[18:19], v[38:39]
	v_fma_f64 v[30:31], v[40:41], s[2:3], v[30:31]
	v_add_f64 v[26:27], v[26:27], v[182:183]
	v_fma_f64 v[142:143], v[42:43], s[8:9], v[38:39]
	v_add_f64 v[38:39], v[154:155], v[184:185]
	v_fma_f64 v[30:31], v[42:43], s[8:9], v[30:31]
	v_add_f64 v[42:43], v[180:181], -v[154:155]
	v_add_f64 v[26:27], v[26:27], v[184:185]
	v_fma_f64 v[38:39], v[38:39], -0.5, v[34:35]
	v_add_f64 v[42:43], v[42:43], v[44:45]
	v_add_f64 v[44:45], v[186:187], -v[188:189]
	v_fma_f64 v[34:35], v[40:41], s[14:15], v[38:39]
	v_fma_f64 v[38:39], v[40:41], s[16:17], v[38:39]
	v_add_f64 v[48:49], v[44:45], v[48:49]
	v_fma_f64 v[34:35], v[36:37], s[18:19], v[34:35]
	v_fma_f64 v[36:37], v[36:37], s[2:3], v[38:39]
	v_add_f64 v[38:39], v[188:189], v[190:191]
	v_fma_f64 v[34:35], v[42:43], s[8:9], v[34:35]
	v_fma_f64 v[154:155], v[42:43], s[8:9], v[36:37]
	v_fma_f64 v[38:39], v[38:39], -0.5, v[20:21]
	v_add_f64 v[42:43], v[164:165], -v[170:171]
	v_add_f64 v[36:37], v[20:21], v[186:187]
	ds_write_b128 v254, v[24:27]
	ds_write_b128 v254, v[140:143] offset:1232
	ds_write_b128 v254, v[32:35] offset:2464
	;; [unrolled: 1-line block ×4, first 2 shown]
	v_mov_b32_e32 v24, 0x181
	v_cndmask_b32_e32 v24, 0, v24, vcc
	v_add_lshl_u32 v24, v124, v24, 4
	v_fma_f64 v[40:41], v[42:43], s[14:15], v[38:39]
	v_fma_f64 v[38:39], v[42:43], s[16:17], v[38:39]
	v_add_f64 v[36:37], v[36:37], v[188:189]
	v_fma_f64 v[40:41], v[46:47], s[2:3], v[40:41]
	v_fma_f64 v[38:39], v[46:47], s[18:19], v[38:39]
	v_add_f64 v[36:37], v[36:37], v[190:191]
	;; [unrolled: 3-line block ×3, first 2 shown]
	v_add_f64 v[48:49], v[188:189], -v[186:187]
	v_add_f64 v[36:37], v[36:37], v[192:193]
	v_fma_f64 v[20:21], v[38:39], -0.5, v[20:21]
	v_add_f64 v[50:51], v[48:49], v[50:51]
	v_fma_f64 v[38:39], v[46:47], s[16:17], v[20:21]
	v_fma_f64 v[20:21], v[46:47], s[14:15], v[20:21]
	;; [unrolled: 1-line block ×4, first 2 shown]
	v_add_f64 v[42:43], v[166:167], v[168:169]
	v_fma_f64 v[48:49], v[50:51], s[8:9], v[38:39]
	v_fma_f64 v[20:21], v[50:51], s[8:9], v[20:21]
	v_fma_f64 v[42:43], v[42:43], -0.5, v[22:23]
	v_add_f64 v[50:51], v[164:165], -v[166:167]
	v_add_f64 v[38:39], v[22:23], v[164:165]
	v_fma_f64 v[46:47], v[52:53], s[16:17], v[42:43]
	v_fma_f64 v[42:43], v[52:53], s[14:15], v[42:43]
	v_add_f64 v[50:51], v[50:51], v[56:57]
	v_add_f64 v[56:57], v[166:167], -v[164:165]
	v_add_f64 v[38:39], v[38:39], v[166:167]
	v_fma_f64 v[46:47], v[54:55], s[18:19], v[46:47]
	v_fma_f64 v[42:43], v[54:55], s[2:3], v[42:43]
	v_add_f64 v[56:57], v[56:57], v[58:59]
	;; [unrolled: 5-line block ×3, first 2 shown]
	v_add_f64 v[38:39], v[38:39], v[170:171]
	v_fma_f64 v[22:23], v[50:51], -0.5, v[22:23]
	v_fma_f64 v[50:51], v[54:55], s[14:15], v[22:23]
	v_fma_f64 v[22:23], v[54:55], s[16:17], v[22:23]
	v_add_f64 v[54:55], v[174:175], v[176:177]
	v_fma_f64 v[50:51], v[52:53], s[18:19], v[50:51]
	v_fma_f64 v[22:23], v[52:53], s[2:3], v[22:23]
	v_fma_f64 v[54:55], v[54:55], -0.5, v[16:17]
	v_add_f64 v[52:53], v[16:17], v[172:173]
	v_fma_f64 v[50:51], v[56:57], s[8:9], v[50:51]
	v_fma_f64 v[22:23], v[56:57], s[8:9], v[22:23]
	;; [unrolled: 1-line block ×4, first 2 shown]
	v_add_f64 v[52:53], v[52:53], v[174:175]
	ds_write_b128 v24, v[36:39]
	ds_write_b128 v24, v[44:47] offset:1232
	ds_write_b128 v24, v[48:51] offset:2464
	;; [unrolled: 1-line block ×3, first 2 shown]
	v_mul_u32_u24_e32 v20, 0x181, v202
	v_add_lshl_u32 v20, v20, v206, 4
	buffer_store_dword v24, off, s[44:47], 0 offset:1880 ; 4-byte Folded Spill
	v_fma_f64 v[56:57], v[62:63], s[2:3], v[56:57]
	v_fma_f64 v[54:55], v[62:63], s[18:19], v[54:55]
	v_add_f64 v[52:53], v[52:53], v[176:177]
	ds_write_b128 v24, v[40:43] offset:4928
	v_fma_f64 v[60:61], v[64:65], s[8:9], v[56:57]
	v_fma_f64 v[56:57], v[64:65], s[8:9], v[54:55]
	v_add_f64 v[54:55], v[172:173], v[178:179]
	v_add_f64 v[64:65], v[174:175], -v[172:173]
	v_add_f64 v[52:53], v[52:53], v[178:179]
	v_fma_f64 v[16:17], v[54:55], -0.5, v[16:17]
	v_add_f64 v[66:67], v[64:65], v[66:67]
	v_fma_f64 v[54:55], v[62:63], s[16:17], v[16:17]
	v_fma_f64 v[16:17], v[62:63], s[14:15], v[16:17]
	;; [unrolled: 1-line block ×4, first 2 shown]
	v_add_f64 v[58:59], v[150:151], v[96:97]
	v_fma_f64 v[64:65], v[66:67], s[8:9], v[54:55]
	v_fma_f64 v[16:17], v[66:67], s[8:9], v[16:17]
	v_fma_f64 v[58:59], v[58:59], -0.5, v[18:19]
	v_add_f64 v[66:67], v[148:149], -v[150:151]
	v_add_f64 v[54:55], v[18:19], v[148:149]
	v_fma_f64 v[62:63], v[68:69], s[16:17], v[58:59]
	v_fma_f64 v[58:59], v[68:69], s[14:15], v[58:59]
	v_add_f64 v[66:67], v[66:67], v[72:73]
	v_add_f64 v[72:73], v[150:151], -v[148:149]
	v_add_f64 v[54:55], v[54:55], v[150:151]
	v_add_f64 v[150:151], v[86:87], -v[82:83]
	v_fma_f64 v[62:63], v[70:71], s[18:19], v[62:63]
	v_fma_f64 v[58:59], v[70:71], s[2:3], v[58:59]
	v_add_f64 v[72:73], v[72:73], v[74:75]
	v_add_f64 v[74:75], v[88:89], -v[86:87]
	v_add_f64 v[54:55], v[54:55], v[96:97]
	v_add_f64 v[96:97], v[158:159], -v[160:161]
	;; [unrolled: 6-line block ×3, first 2 shown]
	v_fma_f64 v[18:19], v[66:67], -0.5, v[18:19]
	v_add_f64 v[148:149], v[148:149], v[150:151]
	v_add_f64 v[150:151], v[100:101], -v[102:103]
	v_fma_f64 v[66:67], v[70:71], s[14:15], v[18:19]
	v_fma_f64 v[18:19], v[70:71], s[16:17], v[18:19]
	v_add_f64 v[70:71], v[158:159], v[160:161]
	v_fma_f64 v[66:67], v[68:69], s[18:19], v[66:67]
	v_fma_f64 v[18:19], v[68:69], s[2:3], v[18:19]
	v_fma_f64 v[70:71], v[70:71], -0.5, v[12:13]
	v_add_f64 v[68:69], v[12:13], v[156:157]
	v_fma_f64 v[66:67], v[72:73], s[8:9], v[66:67]
	v_fma_f64 v[18:19], v[72:73], s[8:9], v[18:19]
	;; [unrolled: 1-line block ×4, first 2 shown]
	v_add_f64 v[68:69], v[68:69], v[158:159]
	ds_write_b128 v20, v[52:55]
	ds_write_b128 v20, v[60:63] offset:1232
	ds_write_b128 v20, v[64:67] offset:2464
	;; [unrolled: 1-line block ×3, first 2 shown]
	v_mov_b32_e32 v16, 4
	v_lshlrev_b32_sdwa v16, v16, v203 dst_sel:DWORD dst_unused:UNUSED_PAD src0_sel:DWORD src1_sel:BYTE_0
	buffer_store_dword v20, off, s[44:47], 0 offset:1844 ; 4-byte Folded Spill
	v_fma_f64 v[72:73], v[78:79], s[2:3], v[72:73]
	v_fma_f64 v[70:71], v[78:79], s[18:19], v[70:71]
	v_add_f64 v[68:69], v[68:69], v[160:161]
	ds_write_b128 v20, v[56:59] offset:4928
	v_fma_f64 v[76:77], v[80:81], s[8:9], v[72:73]
	v_fma_f64 v[72:73], v[80:81], s[8:9], v[70:71]
	v_add_f64 v[70:71], v[156:157], v[162:163]
	v_add_f64 v[80:81], v[158:159], -v[156:157]
	v_add_f64 v[68:69], v[68:69], v[162:163]
	v_fma_f64 v[12:13], v[70:71], -0.5, v[12:13]
	v_add_f64 v[92:93], v[80:81], v[92:93]
	v_fma_f64 v[70:71], v[78:79], s[16:17], v[12:13]
	v_fma_f64 v[12:13], v[78:79], s[14:15], v[12:13]
	;; [unrolled: 1-line block ×4, first 2 shown]
	v_add_f64 v[74:75], v[84:85], v[82:83]
	v_fma_f64 v[80:81], v[92:93], s[8:9], v[70:71]
	v_fma_f64 v[12:13], v[92:93], s[8:9], v[12:13]
	v_fma_f64 v[74:75], v[74:75], -0.5, v[14:15]
	v_add_f64 v[92:93], v[156:157], -v[162:163]
	v_add_f64 v[70:71], v[14:15], v[88:89]
	v_add_f64 v[156:157], v[108:109], -v[112:113]
	v_fma_f64 v[78:79], v[92:93], s[16:17], v[74:75]
	v_fma_f64 v[74:75], v[92:93], s[14:15], v[74:75]
	v_add_f64 v[70:71], v[70:71], v[84:85]
	v_add_f64 v[84:85], v[84:85], -v[88:89]
	v_fma_f64 v[78:79], v[96:97], s[18:19], v[78:79]
	v_fma_f64 v[74:75], v[96:97], s[2:3], v[74:75]
	;; [unrolled: 4-line block ×3, first 2 shown]
	v_add_f64 v[148:149], v[88:89], v[86:87]
	v_add_f64 v[70:71], v[70:71], v[86:87]
	;; [unrolled: 1-line block ×4, first 2 shown]
	v_fma_f64 v[14:15], v[148:149], -0.5, v[14:15]
	v_fma_f64 v[86:87], v[86:87], -0.5, v[8:9]
	v_fma_f64 v[148:149], v[96:97], s[14:15], v[14:15]
	v_fma_f64 v[14:15], v[96:97], s[16:17], v[14:15]
	v_add_f64 v[96:97], v[112:113], -v[108:109]
	v_fma_f64 v[148:149], v[92:93], s[18:19], v[148:149]
	v_fma_f64 v[14:15], v[92:93], s[2:3], v[14:15]
	v_add_f64 v[92:93], v[90:91], -v[94:95]
	v_fma_f64 v[82:83], v[84:85], s[8:9], v[148:149]
	v_add_f64 v[148:149], v[98:99], -v[104:105]
	v_add_f64 v[96:97], v[92:93], v[96:97]
	v_fma_f64 v[14:15], v[84:85], s[8:9], v[14:15]
	v_add_f64 v[84:85], v[8:9], v[90:91]
	ds_write_b128 v16, v[68:71] offset:12320
	ds_write_b128 v16, v[76:79] offset:13552
	;; [unrolled: 1-line block ×4, first 2 shown]
	v_fma_f64 v[88:89], v[148:149], s[14:15], v[86:87]
	v_fma_f64 v[86:87], v[148:149], s[16:17], v[86:87]
	v_mad_legacy_u16 v12, v207, s11, v210
	v_add_f64 v[84:85], v[84:85], v[94:95]
	v_lshlrev_b32_e32 v12, 4, v12
	buffer_store_dword v16, off, s[44:47], 0 offset:1792 ; 4-byte Folded Spill
	ds_write_b128 v16, v[72:75] offset:17248
	v_lshlrev_b32_e32 v210, 4, v213
	v_fma_f64 v[88:89], v[150:151], s[2:3], v[88:89]
	v_fma_f64 v[86:87], v[150:151], s[18:19], v[86:87]
	v_add_f64 v[84:85], v[84:85], v[108:109]
	v_add_f64 v[108:109], v[94:95], -v[108:109]
	v_fma_f64 v[92:93], v[96:97], s[8:9], v[88:89]
	v_fma_f64 v[88:89], v[96:97], s[8:9], v[86:87]
	v_add_f64 v[86:87], v[90:91], v[112:113]
	v_add_f64 v[84:85], v[84:85], v[112:113]
	v_add_f64 v[112:113], v[90:91], -v[112:113]
	v_add_f64 v[96:97], v[94:95], -v[90:91]
	;; [unrolled: 1-line block ×3, first 2 shown]
	v_fma_f64 v[8:9], v[86:87], -0.5, v[8:9]
	v_add_f64 v[156:157], v[96:97], v[156:157]
	v_fma_f64 v[86:87], v[150:151], s[16:17], v[8:9]
	v_fma_f64 v[8:9], v[150:151], s[14:15], v[8:9]
	v_add_f64 v[150:151], v[104:105], -v[102:103]
	v_fma_f64 v[86:87], v[148:149], s[2:3], v[86:87]
	v_fma_f64 v[8:9], v[148:149], s[18:19], v[8:9]
	v_add_f64 v[148:149], v[100:101], v[102:103]
	v_add_f64 v[150:151], v[94:95], v[150:151]
	v_fma_f64 v[96:97], v[156:157], s[8:9], v[86:87]
	v_add_f64 v[86:87], v[10:11], v[98:99]
	v_fma_f64 v[148:149], v[148:149], -0.5, v[10:11]
	v_fma_f64 v[8:9], v[156:157], s[8:9], v[8:9]
	v_add_f64 v[156:157], v[131:132], -v[133:134]
	v_add_f64 v[86:87], v[86:87], v[100:101]
	v_fma_f64 v[90:91], v[112:113], s[16:17], v[148:149]
	v_add_f64 v[86:87], v[86:87], v[102:103]
	v_fma_f64 v[90:91], v[108:109], s[18:19], v[90:91]
	;; [unrolled: 2-line block ×3, first 2 shown]
	v_fma_f64 v[90:91], v[112:113], s[14:15], v[148:149]
	v_add_f64 v[148:149], v[98:99], v[104:105]
	v_add_f64 v[98:99], v[100:101], -v[98:99]
	v_add_f64 v[100:101], v[102:103], -v[104:105]
	v_add_f64 v[102:103], v[110:111], v[131:132]
	v_fma_f64 v[90:91], v[108:109], s[2:3], v[90:91]
	v_fma_f64 v[10:11], v[148:149], -0.5, v[10:11]
	v_add_f64 v[100:101], v[98:99], v[100:101]
	v_fma_f64 v[102:103], v[102:103], -0.5, v[4:5]
	v_fma_f64 v[90:91], v[150:151], s[8:9], v[90:91]
	v_fma_f64 v[148:149], v[108:109], s[14:15], v[10:11]
	v_fma_f64 v[10:11], v[108:109], s[16:17], v[10:11]
	v_add_f64 v[150:151], v[116:117], -v[118:119]
	v_add_f64 v[108:109], v[106:107], -v[110:111]
	v_fma_f64 v[148:149], v[112:113], s[18:19], v[148:149]
	v_fma_f64 v[10:11], v[112:113], s[2:3], v[10:11]
	v_add_f64 v[112:113], v[133:134], -v[131:132]
	v_fma_f64 v[98:99], v[100:101], s[8:9], v[148:149]
	v_add_f64 v[148:149], v[114:115], -v[120:121]
	v_add_f64 v[112:113], v[108:109], v[112:113]
	v_fma_f64 v[10:11], v[100:101], s[8:9], v[10:11]
	v_add_f64 v[100:101], v[4:5], v[106:107]
	ds_write_b128 v12, v[84:87]
	ds_write_b128 v12, v[92:95] offset:1232
	ds_write_b128 v12, v[96:99] offset:2464
	;; [unrolled: 1-line block ×3, first 2 shown]
	v_fma_f64 v[104:105], v[148:149], s[14:15], v[102:103]
	v_fma_f64 v[102:103], v[148:149], s[16:17], v[102:103]
	v_mad_legacy_u16 v8, v211, s11, v212
	v_add_f64 v[100:101], v[100:101], v[110:111]
	s_movk_i32 s11, 0x1000
	v_lshlrev_b32_e32 v211, 4, v8
	buffer_store_dword v12, off, s[44:47], 0 offset:1772 ; 4-byte Folded Spill
	ds_write_b128 v12, v[88:91] offset:4928
	v_fma_f64 v[104:105], v[150:151], s[2:3], v[104:105]
	v_fma_f64 v[102:103], v[150:151], s[18:19], v[102:103]
	v_add_f64 v[100:101], v[100:101], v[131:132]
	v_add_f64 v[131:132], v[110:111], -v[131:132]
	v_fma_f64 v[108:109], v[112:113], s[8:9], v[104:105]
	v_fma_f64 v[104:105], v[112:113], s[8:9], v[102:103]
	v_add_f64 v[102:103], v[106:107], v[133:134]
	v_add_f64 v[100:101], v[100:101], v[133:134]
	v_add_f64 v[133:134], v[106:107], -v[133:134]
	v_add_f64 v[112:113], v[110:111], -v[106:107]
	;; [unrolled: 1-line block ×3, first 2 shown]
	v_fma_f64 v[4:5], v[102:103], -0.5, v[4:5]
	v_add_f64 v[156:157], v[112:113], v[156:157]
	v_fma_f64 v[102:103], v[150:151], s[16:17], v[4:5]
	v_fma_f64 v[4:5], v[150:151], s[14:15], v[4:5]
	v_add_f64 v[150:151], v[120:121], -v[118:119]
	v_fma_f64 v[102:103], v[148:149], s[2:3], v[102:103]
	v_fma_f64 v[4:5], v[148:149], s[18:19], v[4:5]
	v_add_f64 v[148:149], v[116:117], v[118:119]
	v_add_f64 v[150:151], v[110:111], v[150:151]
	v_fma_f64 v[112:113], v[156:157], s[8:9], v[102:103]
	v_add_f64 v[102:103], v[6:7], v[114:115]
	v_fma_f64 v[148:149], v[148:149], -0.5, v[6:7]
	v_fma_f64 v[4:5], v[156:157], s[8:9], v[4:5]
	v_add_f64 v[156:157], v[144:145], -v[146:147]
	v_add_f64 v[102:103], v[102:103], v[116:117]
	v_fma_f64 v[106:107], v[133:134], s[16:17], v[148:149]
	v_add_f64 v[102:103], v[102:103], v[118:119]
	v_fma_f64 v[106:107], v[131:132], s[18:19], v[106:107]
	v_add_f64 v[102:103], v[102:103], v[120:121]
	v_fma_f64 v[110:111], v[150:151], s[8:9], v[106:107]
	v_fma_f64 v[106:107], v[133:134], s[14:15], v[148:149]
	v_add_f64 v[148:149], v[114:115], v[120:121]
	v_add_f64 v[114:115], v[116:117], -v[114:115]
	v_add_f64 v[116:117], v[118:119], -v[120:121]
	v_add_f64 v[118:119], v[137:138], v[144:145]
	v_add_f64 v[120:121], v[122:123], -v[129:130]
	v_fma_f64 v[106:107], v[131:132], s[2:3], v[106:107]
	v_fma_f64 v[6:7], v[148:149], -0.5, v[6:7]
	v_add_f64 v[116:117], v[114:115], v[116:117]
	v_fma_f64 v[118:119], v[118:119], -0.5, v[0:1]
	v_fma_f64 v[106:107], v[150:151], s[8:9], v[106:107]
	v_fma_f64 v[148:149], v[131:132], s[14:15], v[6:7]
	;; [unrolled: 1-line block ×3, first 2 shown]
	v_add_f64 v[150:151], v[146:147], -v[144:145]
	v_fma_f64 v[131:132], v[120:121], s[14:15], v[118:119]
	v_fma_f64 v[118:119], v[120:121], s[16:17], v[118:119]
	;; [unrolled: 1-line block ×4, first 2 shown]
	v_add_f64 v[133:134], v[125:126], -v[127:128]
	v_fma_f64 v[114:115], v[116:117], s[8:9], v[148:149]
	v_add_f64 v[148:149], v[135:136], -v[137:138]
	v_fma_f64 v[131:132], v[133:134], s[2:3], v[131:132]
	v_fma_f64 v[118:119], v[133:134], s[18:19], v[118:119]
	;; [unrolled: 1-line block ×3, first 2 shown]
	v_add_f64 v[116:117], v[0:1], v[135:136]
	ds_write_b128 v211, v[100:103]
	ds_write_b128 v211, v[108:111] offset:1232
	ds_write_b128 v211, v[112:115] offset:2464
	;; [unrolled: 1-line block ×4, first 2 shown]
	v_add_f64 v[148:149], v[148:149], v[150:151]
	v_add_f64 v[150:151], v[137:138], -v[135:136]
	v_add_f64 v[116:117], v[116:117], v[137:138]
	v_add_f64 v[137:138], v[137:138], -v[144:145]
	v_fma_f64 v[131:132], v[148:149], s[8:9], v[131:132]
	v_fma_f64 v[148:149], v[148:149], s[8:9], v[118:119]
	v_add_f64 v[118:119], v[135:136], v[146:147]
	v_add_f64 v[116:117], v[116:117], v[144:145]
	;; [unrolled: 1-line block ×3, first 2 shown]
	v_add_f64 v[135:136], v[135:136], -v[146:147]
	v_add_f64 v[144:145], v[122:123], -v[125:126]
	v_fma_f64 v[118:119], v[118:119], -0.5, v[0:1]
	v_add_f64 v[116:117], v[116:117], v[146:147]
	v_add_f64 v[146:147], v[129:130], -v[127:128]
	v_fma_f64 v[0:1], v[133:134], s[16:17], v[118:119]
	v_fma_f64 v[118:119], v[133:134], s[14:15], v[118:119]
	v_add_f64 v[133:134], v[125:126], v[127:128]
	v_add_f64 v[144:145], v[144:145], v[146:147]
	v_fma_f64 v[0:1], v[120:121], s[2:3], v[0:1]
	v_fma_f64 v[118:119], v[120:121], s[18:19], v[118:119]
	v_fma_f64 v[0:1], v[150:151], s[8:9], v[0:1]
	v_fma_f64 v[120:121], v[150:151], s[8:9], v[118:119]
	v_fma_f64 v[150:151], v[133:134], -0.5, v[2:3]
	v_add_f64 v[118:119], v[2:3], v[122:123]
	v_fma_f64 v[133:134], v[135:136], s[16:17], v[150:151]
	v_fma_f64 v[146:147], v[135:136], s[14:15], v[150:151]
	v_add_f64 v[118:119], v[118:119], v[125:126]
	v_fma_f64 v[133:134], v[137:138], s[18:19], v[133:134]
	v_fma_f64 v[146:147], v[137:138], s[2:3], v[146:147]
	;; [unrolled: 3-line block ×3, first 2 shown]
	v_add_f64 v[144:145], v[122:123], v[129:130]
	v_add_f64 v[122:123], v[125:126], -v[122:123]
	v_add_f64 v[125:126], v[127:128], -v[129:130]
	v_add_f64 v[118:119], v[118:119], v[129:130]
	v_fma_f64 v[144:145], v[144:145], -0.5, v[2:3]
	v_add_f64 v[122:123], v[122:123], v[125:126]
	v_fma_f64 v[2:3], v[137:138], s[14:15], v[144:145]
	v_fma_f64 v[125:126], v[137:138], s[16:17], v[144:145]
	v_fma_f64 v[2:3], v[135:136], s[18:19], v[2:3]
	v_fma_f64 v[125:126], v[135:136], s[2:3], v[125:126]
	v_add_co_u32_e32 v136, vcc, s20, v200
	v_addc_co_u32_e32 v137, vcc, 0, v201, vcc
	v_add_co_u32_e32 v144, vcc, s11, v200
	v_fma_f64 v[2:3], v[122:123], s[8:9], v[2:3]
	v_fma_f64 v[122:123], v[122:123], s[8:9], v[125:126]
	v_addc_co_u32_e32 v145, vcc, 0, v201, vcc
	ds_write_b128 v210, v[116:119] offset:24640
	ds_write_b128 v210, v[131:134] offset:25872
	;; [unrolled: 1-line block ×5, first 2 shown]
	s_waitcnt lgkmcnt(0)
	; wave barrier
	s_waitcnt lgkmcnt(0)
	ds_read_b128 v[44:47], v254
	ds_read_b128 v[124:127], v254 offset:6160
	ds_read_b128 v[128:131], v254 offset:12320
	;; [unrolled: 1-line block ×34, first 2 shown]
	global_load_dwordx4 v[148:151], v[144:145], off offset:1952
	s_nop 0
	global_load_dwordx4 v[144:147], v[136:137], off offset:48
	global_load_dwordx4 v[152:155], v[136:137], off offset:32
	;; [unrolled: 1-line block ×3, first 2 shown]
	s_waitcnt vmcnt(3) lgkmcnt(14)
	v_mul_f64 v[136:137], v[126:127], v[150:151]
	v_fma_f64 v[196:197], v[124:125], v[148:149], -v[136:137]
	v_mul_f64 v[124:125], v[124:125], v[150:151]
	buffer_store_dword v148, off, s[44:47], 0 offset:1740 ; 4-byte Folded Spill
	s_nop 0
	buffer_store_dword v149, off, s[44:47], 0 offset:1744 ; 4-byte Folded Spill
	buffer_store_dword v150, off, s[44:47], 0 offset:1748 ; 4-byte Folded Spill
	;; [unrolled: 1-line block ×3, first 2 shown]
	v_fma_f64 v[180:181], v[126:127], v[148:149], v[124:125]
	s_waitcnt vmcnt(4)
	v_mul_f64 v[124:125], v[130:131], v[158:159]
	v_fma_f64 v[198:199], v[128:129], v[156:157], -v[124:125]
	v_mul_f64 v[124:125], v[128:129], v[158:159]
	buffer_store_dword v156, off, s[44:47], 0 offset:1776 ; 4-byte Folded Spill
	s_nop 0
	buffer_store_dword v157, off, s[44:47], 0 offset:1780 ; 4-byte Folded Spill
	buffer_store_dword v158, off, s[44:47], 0 offset:1784 ; 4-byte Folded Spill
	buffer_store_dword v159, off, s[44:47], 0 offset:1788 ; 4-byte Folded Spill
	v_fma_f64 v[182:183], v[130:131], v[156:157], v[124:125]
	v_mul_f64 v[124:125], v[134:135], v[154:155]
	v_fma_f64 v[200:201], v[132:133], v[152:153], -v[124:125]
	v_mul_f64 v[124:125], v[132:133], v[154:155]
	buffer_store_dword v152, off, s[44:47], 0 offset:1756 ; 4-byte Folded Spill
	s_nop 0
	buffer_store_dword v153, off, s[44:47], 0 offset:1760 ; 4-byte Folded Spill
	buffer_store_dword v154, off, s[44:47], 0 offset:1764 ; 4-byte Folded Spill
	buffer_store_dword v155, off, s[44:47], 0 offset:1768 ; 4-byte Folded Spill
	v_fma_f64 v[184:185], v[134:135], v[152:153], v[124:125]
	;; [unrolled: 9-line block ×3, first 2 shown]
	v_lshlrev_b32_e32 v124, 6, v215
	v_add_co_u32_e32 v126, vcc, s10, v124
	v_addc_co_u32_e32 v127, vcc, 0, v205, vcc
	v_add_co_u32_e32 v124, vcc, s20, v126
	v_addc_co_u32_e32 v125, vcc, 0, v127, vcc
	;; [unrolled: 2-line block ×3, first 2 shown]
	global_load_dwordx4 v[134:137], v[126:127], off offset:1952
	s_nop 0
	global_load_dwordx4 v[126:129], v[124:125], off offset:48
	global_load_dwordx4 v[130:133], v[124:125], off offset:32
	;; [unrolled: 1-line block ×3, first 2 shown]
	s_waitcnt vmcnt(3)
	v_mul_f64 v[124:125], v[122:123], v[136:137]
	v_fma_f64 v[188:189], v[120:121], v[134:135], -v[124:125]
	v_mul_f64 v[120:121], v[120:121], v[136:137]
	buffer_store_dword v134, off, s[44:47], 0 offset:1812 ; 4-byte Folded Spill
	s_nop 0
	buffer_store_dword v135, off, s[44:47], 0 offset:1816 ; 4-byte Folded Spill
	buffer_store_dword v136, off, s[44:47], 0 offset:1820 ; 4-byte Folded Spill
	buffer_store_dword v137, off, s[44:47], 0 offset:1824 ; 4-byte Folded Spill
	v_fma_f64 v[174:175], v[122:123], v[134:135], v[120:121]
	s_waitcnt vmcnt(4)
	v_mul_f64 v[120:121], v[118:119], v[142:143]
	v_fma_f64 v[190:191], v[116:117], v[140:141], -v[120:121]
	v_mul_f64 v[116:117], v[116:117], v[142:143]
	buffer_store_dword v140, off, s[44:47], 0 offset:1828 ; 4-byte Folded Spill
	s_nop 0
	buffer_store_dword v141, off, s[44:47], 0 offset:1832 ; 4-byte Folded Spill
	buffer_store_dword v142, off, s[44:47], 0 offset:1836 ; 4-byte Folded Spill
	buffer_store_dword v143, off, s[44:47], 0 offset:1840 ; 4-byte Folded Spill
	v_fma_f64 v[116:117], v[118:119], v[140:141], v[116:117]
	v_mul_f64 v[118:119], v[114:115], v[132:133]
	v_fma_f64 v[192:193], v[112:113], v[130:131], -v[118:119]
	v_mul_f64 v[112:113], v[112:113], v[132:133]
	buffer_store_dword v130, off, s[44:47], 0 offset:1796 ; 4-byte Folded Spill
	s_nop 0
	buffer_store_dword v131, off, s[44:47], 0 offset:1800 ; 4-byte Folded Spill
	buffer_store_dword v132, off, s[44:47], 0 offset:1804 ; 4-byte Folded Spill
	buffer_store_dword v133, off, s[44:47], 0 offset:1808 ; 4-byte Folded Spill
	v_fma_f64 v[176:177], v[114:115], v[130:131], v[112:113]
	;; [unrolled: 9-line block ×3, first 2 shown]
	v_lshlrev_b32_e32 v108, 6, v216
	v_add_co_u32_e32 v110, vcc, s10, v108
	v_addc_co_u32_e32 v111, vcc, 0, v205, vcc
	v_add_co_u32_e32 v108, vcc, s20, v110
	v_addc_co_u32_e32 v109, vcc, 0, v111, vcc
	;; [unrolled: 2-line block ×3, first 2 shown]
	global_load_dwordx4 v[122:125], v[110:111], off offset:1952
	s_nop 0
	global_load_dwordx4 v[110:113], v[108:109], off offset:48
	global_load_dwordx4 v[118:121], v[108:109], off offset:32
	;; [unrolled: 1-line block ×3, first 2 shown]
	s_waitcnt vmcnt(3)
	v_mul_f64 v[108:109], v[106:107], v[124:125]
	v_fma_f64 v[140:141], v[104:105], v[122:123], -v[108:109]
	v_mul_f64 v[104:105], v[104:105], v[124:125]
	buffer_store_dword v122, off, s[44:47], 0 offset:1864 ; 4-byte Folded Spill
	s_nop 0
	buffer_store_dword v123, off, s[44:47], 0 offset:1868 ; 4-byte Folded Spill
	buffer_store_dword v124, off, s[44:47], 0 offset:1872 ; 4-byte Folded Spill
	buffer_store_dword v125, off, s[44:47], 0 offset:1876 ; 4-byte Folded Spill
	v_fma_f64 v[104:105], v[106:107], v[122:123], v[104:105]
	s_waitcnt vmcnt(4)
	v_mul_f64 v[106:107], v[102:103], v[128:129]
	v_fma_f64 v[142:143], v[100:101], v[126:127], -v[106:107]
	v_mul_f64 v[100:101], v[100:101], v[128:129]
	buffer_store_dword v126, off, s[44:47], 0 offset:1884 ; 4-byte Folded Spill
	s_nop 0
	buffer_store_dword v127, off, s[44:47], 0 offset:1888 ; 4-byte Folded Spill
	buffer_store_dword v128, off, s[44:47], 0 offset:1892 ; 4-byte Folded Spill
	buffer_store_dword v129, off, s[44:47], 0 offset:1896 ; 4-byte Folded Spill
	v_fma_f64 v[100:101], v[102:103], v[126:127], v[100:101]
	v_mul_f64 v[102:103], v[98:99], v[120:121]
	v_fma_f64 v[152:153], v[96:97], v[118:119], -v[102:103]
	v_mul_f64 v[96:97], v[96:97], v[120:121]
	buffer_store_dword v118, off, s[44:47], 0 offset:1848 ; 4-byte Folded Spill
	s_nop 0
	buffer_store_dword v119, off, s[44:47], 0 offset:1852 ; 4-byte Folded Spill
	buffer_store_dword v120, off, s[44:47], 0 offset:1856 ; 4-byte Folded Spill
	buffer_store_dword v121, off, s[44:47], 0 offset:1860 ; 4-byte Folded Spill
	v_fma_f64 v[96:97], v[98:99], v[118:119], v[96:97]
	;; [unrolled: 9-line block ×3, first 2 shown]
	v_lshlrev_b32_e32 v94, 6, v217
	v_add_co_u32_e32 v102, vcc, s10, v94
	v_addc_co_u32_e32 v103, vcc, 0, v205, vcc
	v_add_co_u32_e32 v94, vcc, s20, v102
	v_addc_co_u32_e32 v95, vcc, 0, v103, vcc
	v_add_co_u32_e32 v102, vcc, s11, v102
	v_addc_co_u32_e32 v103, vcc, 0, v103, vcc
	global_load_dwordx4 v[212:215], v[102:103], off offset:1952
	global_load_dwordx4 v[110:113], v[94:95], off offset:48
	;; [unrolled: 1-line block ×4, first 2 shown]
	s_waitcnt vmcnt(3)
	v_mul_f64 v[94:95], v[90:91], v[214:215]
	v_fma_f64 v[94:95], v[88:89], v[212:213], -v[94:95]
	v_mul_f64 v[88:89], v[88:89], v[214:215]
	v_fma_f64 v[102:103], v[90:91], v[212:213], v[88:89]
	s_waitcnt vmcnt(0)
	v_mul_f64 v[88:89], v[86:87], v[218:219]
	v_add_f64 v[90:91], v[142:143], -v[152:153]
	v_fma_f64 v[154:155], v[84:85], v[216:217], -v[88:89]
	v_mul_f64 v[84:85], v[84:85], v[218:219]
	v_add_f64 v[88:89], v[140:141], -v[98:99]
	v_fma_f64 v[106:107], v[86:87], v[216:217], v[84:85]
	v_mul_f64 v[84:85], v[82:83], v[120:121]
	v_add_f64 v[86:87], v[152:153], -v[98:99]
	v_fma_f64 v[164:165], v[80:81], v[118:119], -v[84:85]
	v_mul_f64 v[80:81], v[80:81], v[120:121]
	buffer_store_dword v118, off, s[44:47], 0 offset:1900 ; 4-byte Folded Spill
	s_nop 0
	buffer_store_dword v119, off, s[44:47], 0 offset:1904 ; 4-byte Folded Spill
	buffer_store_dword v120, off, s[44:47], 0 offset:1908 ; 4-byte Folded Spill
	;; [unrolled: 1-line block ×3, first 2 shown]
	v_add_f64 v[84:85], v[98:99], -v[152:153]
	v_fma_f64 v[108:109], v[82:83], v[118:119], v[80:81]
	v_mul_f64 v[80:81], v[78:79], v[112:113]
	v_add_f64 v[82:83], v[100:101], -v[96:97]
	v_fma_f64 v[166:167], v[76:77], v[110:111], -v[80:81]
	v_mul_f64 v[76:77], v[76:77], v[112:113]
	buffer_store_dword v110, off, s[44:47], 0 offset:4 ; 4-byte Folded Spill
	s_nop 0
	buffer_store_dword v111, off, s[44:47], 0 offset:8 ; 4-byte Folded Spill
	buffer_store_dword v112, off, s[44:47], 0 offset:12 ; 4-byte Folded Spill
	;; [unrolled: 1-line block ×3, first 2 shown]
	v_add_f64 v[80:81], v[140:141], -v[142:143]
	v_add_f64 v[84:85], v[80:81], v[84:85]
	v_fma_f64 v[112:113], v[78:79], v[110:111], v[76:77]
	v_lshlrev_b32_e32 v76, 6, v220
	v_add_co_u32_e32 v78, vcc, s10, v76
	v_addc_co_u32_e32 v79, vcc, 0, v205, vcc
	v_add_co_u32_e32 v76, vcc, s20, v78
	v_addc_co_u32_e32 v77, vcc, 0, v79, vcc
	;; [unrolled: 2-line block ×3, first 2 shown]
	global_load_dwordx4 v[232:235], v[78:79], off offset:1952
	global_load_dwordx4 v[220:223], v[76:77], off offset:48
	;; [unrolled: 1-line block ×4, first 2 shown]
	v_add_f64 v[78:79], v[176:177], -v[178:179]
	s_waitcnt vmcnt(3) lgkmcnt(13)
	v_mul_f64 v[76:77], v[74:75], v[234:235]
	v_fma_f64 v[110:111], v[72:73], v[232:233], -v[76:77]
	v_mul_f64 v[72:73], v[72:73], v[234:235]
	v_add_f64 v[76:77], v[178:179], -v[176:177]
	v_fma_f64 v[118:119], v[74:75], v[232:233], v[72:73]
	s_waitcnt vmcnt(0) lgkmcnt(12)
	v_mul_f64 v[72:73], v[70:71], v[230:231]
	v_add_f64 v[74:75], v[190:191], -v[192:193]
	v_fma_f64 v[114:115], v[68:69], v[228:229], -v[72:73]
	v_mul_f64 v[68:69], v[68:69], v[230:231]
	v_add_f64 v[72:73], v[188:189], -v[194:195]
	v_fma_f64 v[120:121], v[70:71], v[228:229], v[68:69]
	s_waitcnt lgkmcnt(11)
	v_mul_f64 v[68:69], v[66:67], v[226:227]
	v_add_f64 v[70:71], v[192:193], -v[194:195]
	v_fma_f64 v[128:129], v[64:65], v[224:225], -v[68:69]
	v_mul_f64 v[64:65], v[64:65], v[226:227]
	v_add_f64 v[68:69], v[194:195], -v[192:193]
	v_fma_f64 v[122:123], v[66:67], v[224:225], v[64:65]
	s_waitcnt lgkmcnt(10)
	v_mul_f64 v[64:65], v[62:63], v[222:223]
	v_add_f64 v[66:67], v[116:117], -v[176:177]
	v_fma_f64 v[132:133], v[60:61], v[220:221], -v[64:65]
	v_mul_f64 v[60:61], v[60:61], v[222:223]
	v_add_f64 v[64:65], v[188:189], -v[190:191]
	v_fma_f64 v[124:125], v[62:63], v[220:221], v[60:61]
	v_lshlrev_b32_e32 v60, 6, v204
	v_add_co_u32_e32 v62, vcc, s10, v60
	v_addc_co_u32_e32 v63, vcc, 0, v205, vcc
	v_add_co_u32_e32 v60, vcc, s20, v62
	v_addc_co_u32_e32 v61, vcc, 0, v63, vcc
	;; [unrolled: 2-line block ×3, first 2 shown]
	global_load_dwordx4 v[248:251], v[62:63], off offset:1952
	global_load_dwordx4 v[236:239], v[60:61], off offset:48
	;; [unrolled: 1-line block ×4, first 2 shown]
	v_add_f64 v[62:63], v[184:185], -v[186:187]
	v_add_f64 v[68:69], v[64:65], v[68:69]
	s_waitcnt vmcnt(3) lgkmcnt(8)
	v_mul_f64 v[60:61], v[58:59], v[250:251]
	v_fma_f64 v[126:127], v[56:57], v[248:249], -v[60:61]
	v_mul_f64 v[56:57], v[56:57], v[250:251]
	v_add_f64 v[60:61], v[186:187], -v[184:185]
	v_fma_f64 v[134:135], v[58:59], v[248:249], v[56:57]
	s_waitcnt vmcnt(0) lgkmcnt(7)
	v_mul_f64 v[56:57], v[10:11], v[246:247]
	v_add_f64 v[58:59], v[198:199], -v[200:201]
	v_fma_f64 v[130:131], v[8:9], v[244:245], -v[56:57]
	v_mul_f64 v[8:9], v[8:9], v[246:247]
	v_fma_f64 v[158:159], v[10:11], v[244:245], v[8:9]
	s_waitcnt lgkmcnt(6)
	v_mul_f64 v[8:9], v[6:7], v[242:243]
	v_fma_f64 v[170:171], v[4:5], v[240:241], -v[8:9]
	v_mul_f64 v[4:5], v[4:5], v[242:243]
	v_fma_f64 v[162:163], v[6:7], v[240:241], v[4:5]
	s_waitcnt lgkmcnt(5)
	v_mul_f64 v[4:5], v[2:3], v[238:239]
	v_fma_f64 v[172:173], v[0:1], v[236:237], -v[4:5]
	v_mul_f64 v[0:1], v[0:1], v[238:239]
	v_fma_f64 v[168:169], v[2:3], v[236:237], v[0:1]
	v_lshlrev_b32_e32 v0, 6, v139
	v_add_co_u32_e32 v0, vcc, s10, v0
	v_addc_co_u32_e32 v1, vcc, 0, v205, vcc
	v_add_co_u32_e32 v4, vcc, s20, v0
	v_addc_co_u32_e32 v5, vcc, 0, v1, vcc
	;; [unrolled: 2-line block ×3, first 2 shown]
	global_load_dwordx4 v[8:11], v[0:1], off offset:1952
	global_load_dwordx4 v[204:207], v[4:5], off offset:48
	s_nop 0
	global_load_dwordx4 v[0:3], v[4:5], off offset:32
	s_nop 0
	global_load_dwordx4 v[4:7], v[4:5], off offset:16
	s_mov_b32 s10, 0x37e14327
	s_mov_b32 s11, 0x3fe948f6
	s_waitcnt vmcnt(3) lgkmcnt(3)
	v_mul_f64 v[56:57], v[50:51], v[10:11]
	v_fma_f64 v[148:149], v[48:49], v[8:9], -v[56:57]
	v_mul_f64 v[48:49], v[48:49], v[10:11]
	v_add_f64 v[56:57], v[196:197], -v[202:203]
	v_fma_f64 v[136:137], v[50:51], v[8:9], v[48:49]
	s_waitcnt vmcnt(0) lgkmcnt(2)
	v_mul_f64 v[48:49], v[42:43], v[6:7]
	v_add_f64 v[50:51], v[200:201], -v[202:203]
	v_fma_f64 v[150:151], v[40:41], v[4:5], -v[48:49]
	v_mul_f64 v[40:41], v[40:41], v[6:7]
	v_add_f64 v[48:49], v[202:203], -v[200:201]
	v_fma_f64 v[138:139], v[42:43], v[4:5], v[40:41]
	s_waitcnt lgkmcnt(1)
	v_mul_f64 v[40:41], v[38:39], v[2:3]
	v_add_f64 v[42:43], v[182:183], -v[184:185]
	v_fma_f64 v[156:157], v[36:37], v[0:1], -v[40:41]
	v_mul_f64 v[36:37], v[36:37], v[2:3]
	v_add_f64 v[40:41], v[196:197], -v[198:199]
	v_fma_f64 v[144:145], v[38:39], v[0:1], v[36:37]
	s_waitcnt lgkmcnt(0)
	v_mul_f64 v[36:37], v[34:35], v[206:207]
	v_add_f64 v[38:39], v[180:181], -v[186:187]
	v_add_f64 v[48:49], v[40:41], v[48:49]
	v_fma_f64 v[160:161], v[32:33], v[204:205], -v[36:37]
	v_mul_f64 v[32:33], v[32:33], v[206:207]
	v_fma_f64 v[146:147], v[34:35], v[204:205], v[32:33]
	v_add_f64 v[34:35], v[198:199], v[200:201]
	v_add_f64 v[32:33], v[44:45], v[196:197]
	v_fma_f64 v[34:35], v[34:35], -0.5, v[44:45]
	v_add_f64 v[32:33], v[32:33], v[198:199]
	v_fma_f64 v[36:37], v[38:39], s[14:15], v[34:35]
	v_fma_f64 v[34:35], v[38:39], s[16:17], v[34:35]
	v_add_f64 v[32:33], v[32:33], v[200:201]
	v_fma_f64 v[36:37], v[42:43], s[2:3], v[36:37]
	v_fma_f64 v[34:35], v[42:43], s[18:19], v[34:35]
	;; [unrolled: 3-line block ×3, first 2 shown]
	v_add_f64 v[34:35], v[196:197], v[202:203]
	v_add_f64 v[48:49], v[198:199], -v[196:197]
	v_fma_f64 v[34:35], v[34:35], -0.5, v[44:45]
	v_add_f64 v[50:51], v[48:49], v[50:51]
	v_fma_f64 v[44:45], v[42:43], s[16:17], v[34:35]
	v_fma_f64 v[34:35], v[42:43], s[14:15], v[34:35]
	;; [unrolled: 1-line block ×4, first 2 shown]
	v_add_f64 v[38:39], v[182:183], v[184:185]
	v_fma_f64 v[48:49], v[50:51], s[8:9], v[44:45]
	v_fma_f64 v[44:45], v[50:51], s[8:9], v[34:35]
	v_fma_f64 v[38:39], v[38:39], -0.5, v[46:47]
	v_add_f64 v[50:51], v[180:181], -v[182:183]
	v_add_f64 v[34:35], v[46:47], v[180:181]
	v_fma_f64 v[42:43], v[56:57], s[16:17], v[38:39]
	v_fma_f64 v[38:39], v[56:57], s[14:15], v[38:39]
	v_add_f64 v[50:51], v[50:51], v[60:61]
	v_add_f64 v[60:61], v[182:183], -v[180:181]
	v_add_f64 v[34:35], v[34:35], v[182:183]
	v_fma_f64 v[42:43], v[58:59], s[18:19], v[42:43]
	v_fma_f64 v[38:39], v[58:59], s[2:3], v[38:39]
	v_add_f64 v[60:61], v[60:61], v[62:63]
	;; [unrolled: 5-line block ×3, first 2 shown]
	v_add_f64 v[34:35], v[34:35], v[186:187]
	v_fma_f64 v[46:47], v[50:51], -0.5, v[46:47]
	v_fma_f64 v[50:51], v[58:59], s[14:15], v[46:47]
	v_fma_f64 v[46:47], v[58:59], s[16:17], v[46:47]
	v_add_f64 v[58:59], v[190:191], v[192:193]
	v_fma_f64 v[50:51], v[56:57], s[18:19], v[50:51]
	v_fma_f64 v[46:47], v[56:57], s[2:3], v[46:47]
	v_fma_f64 v[58:59], v[58:59], -0.5, v[52:53]
	v_add_f64 v[56:57], v[52:53], v[188:189]
	v_fma_f64 v[50:51], v[60:61], s[8:9], v[50:51]
	v_fma_f64 v[46:47], v[60:61], s[8:9], v[46:47]
	v_fma_f64 v[60:61], v[62:63], s[14:15], v[58:59]
	v_fma_f64 v[58:59], v[62:63], s[16:17], v[58:59]
	v_add_f64 v[56:57], v[56:57], v[190:191]
	v_fma_f64 v[60:61], v[66:67], s[2:3], v[60:61]
	v_fma_f64 v[58:59], v[66:67], s[18:19], v[58:59]
	v_add_f64 v[56:57], v[56:57], v[192:193]
	v_fma_f64 v[64:65], v[68:69], s[8:9], v[60:61]
	v_fma_f64 v[60:61], v[68:69], s[8:9], v[58:59]
	v_add_f64 v[58:59], v[188:189], v[194:195]
	v_add_f64 v[68:69], v[190:191], -v[188:189]
	v_add_f64 v[56:57], v[56:57], v[194:195]
	v_fma_f64 v[52:53], v[58:59], -0.5, v[52:53]
	v_add_f64 v[70:71], v[68:69], v[70:71]
	v_fma_f64 v[58:59], v[66:67], s[16:17], v[52:53]
	v_fma_f64 v[52:53], v[66:67], s[14:15], v[52:53]
	;; [unrolled: 1-line block ×4, first 2 shown]
	v_add_f64 v[62:63], v[116:117], v[176:177]
	v_fma_f64 v[68:69], v[70:71], s[8:9], v[58:59]
	v_fma_f64 v[52:53], v[70:71], s[8:9], v[52:53]
	v_fma_f64 v[62:63], v[62:63], -0.5, v[54:55]
	v_add_f64 v[70:71], v[174:175], -v[116:117]
	v_add_f64 v[58:59], v[54:55], v[174:175]
	v_fma_f64 v[66:67], v[72:73], s[16:17], v[62:63]
	v_fma_f64 v[62:63], v[72:73], s[14:15], v[62:63]
	v_add_f64 v[70:71], v[70:71], v[76:77]
	v_add_f64 v[76:77], v[116:117], -v[174:175]
	v_add_f64 v[58:59], v[58:59], v[116:117]
	v_add_f64 v[116:117], v[164:165], -v[166:167]
	v_fma_f64 v[66:67], v[74:75], s[18:19], v[66:67]
	v_fma_f64 v[62:63], v[74:75], s[2:3], v[62:63]
	v_add_f64 v[76:77], v[76:77], v[78:79]
	v_add_f64 v[78:79], v[104:105], -v[92:93]
	v_add_f64 v[58:59], v[58:59], v[176:177]
	v_fma_f64 v[66:67], v[70:71], s[8:9], v[66:67]
	v_fma_f64 v[62:63], v[70:71], s[8:9], v[62:63]
	v_add_f64 v[70:71], v[174:175], v[178:179]
	v_add_f64 v[58:59], v[58:59], v[178:179]
	v_fma_f64 v[54:55], v[70:71], -0.5, v[54:55]
	v_fma_f64 v[70:71], v[74:75], s[14:15], v[54:55]
	v_fma_f64 v[54:55], v[74:75], s[16:17], v[54:55]
	v_add_f64 v[74:75], v[142:143], v[152:153]
	v_fma_f64 v[70:71], v[72:73], s[18:19], v[70:71]
	v_fma_f64 v[54:55], v[72:73], s[2:3], v[54:55]
	v_fma_f64 v[74:75], v[74:75], -0.5, v[28:29]
	v_add_f64 v[72:73], v[28:29], v[140:141]
	v_fma_f64 v[70:71], v[76:77], s[8:9], v[70:71]
	v_fma_f64 v[54:55], v[76:77], s[8:9], v[54:55]
	;; [unrolled: 1-line block ×4, first 2 shown]
	v_add_f64 v[72:73], v[72:73], v[142:143]
	v_fma_f64 v[76:77], v[82:83], s[2:3], v[76:77]
	v_fma_f64 v[74:75], v[82:83], s[18:19], v[74:75]
	v_add_f64 v[72:73], v[72:73], v[152:153]
	v_add_f64 v[152:153], v[128:129], -v[132:133]
	v_fma_f64 v[80:81], v[84:85], s[8:9], v[76:77]
	v_fma_f64 v[76:77], v[84:85], s[8:9], v[74:75]
	v_add_f64 v[74:75], v[140:141], v[98:99]
	v_add_f64 v[84:85], v[142:143], -v[140:141]
	v_add_f64 v[72:73], v[72:73], v[98:99]
	v_add_f64 v[98:99], v[92:93], -v[96:97]
	v_add_f64 v[140:141], v[154:155], -v[164:165]
	;; [unrolled: 1-line block ×3, first 2 shown]
	v_fma_f64 v[28:29], v[74:75], -0.5, v[28:29]
	v_add_f64 v[86:87], v[84:85], v[86:87]
	v_fma_f64 v[74:75], v[82:83], s[16:17], v[28:29]
	v_fma_f64 v[28:29], v[82:83], s[14:15], v[28:29]
	v_fma_f64 v[74:75], v[78:79], s[2:3], v[74:75]
	v_fma_f64 v[28:29], v[78:79], s[18:19], v[28:29]
	v_add_f64 v[78:79], v[100:101], v[96:97]
	v_fma_f64 v[84:85], v[86:87], s[8:9], v[74:75]
	v_fma_f64 v[28:29], v[86:87], s[8:9], v[28:29]
	v_fma_f64 v[78:79], v[78:79], -0.5, v[30:31]
	v_add_f64 v[86:87], v[104:105], -v[100:101]
	v_add_f64 v[74:75], v[30:31], v[104:105]
	v_fma_f64 v[82:83], v[88:89], s[16:17], v[78:79]
	v_fma_f64 v[78:79], v[88:89], s[14:15], v[78:79]
	v_add_f64 v[86:87], v[86:87], v[98:99]
	v_add_f64 v[74:75], v[74:75], v[100:101]
	v_add_f64 v[98:99], v[100:101], -v[104:105]
	v_add_f64 v[100:101], v[166:167], -v[164:165]
	v_fma_f64 v[82:83], v[90:91], s[18:19], v[82:83]
	v_fma_f64 v[78:79], v[90:91], s[2:3], v[78:79]
	v_add_f64 v[74:75], v[74:75], v[96:97]
	v_fma_f64 v[82:83], v[86:87], s[8:9], v[82:83]
	v_fma_f64 v[78:79], v[86:87], s[8:9], v[78:79]
	v_add_f64 v[86:87], v[104:105], v[92:93]
	v_add_f64 v[74:75], v[74:75], v[92:93]
	v_add_f64 v[92:93], v[96:97], -v[92:93]
	v_add_f64 v[104:105], v[106:107], -v[108:109]
	v_add_f64 v[96:97], v[94:95], -v[154:155]
	v_fma_f64 v[30:31], v[86:87], -0.5, v[30:31]
	v_add_f64 v[92:93], v[98:99], v[92:93]
	v_add_f64 v[98:99], v[102:103], -v[112:113]
	v_add_f64 v[100:101], v[96:97], v[100:101]
	v_fma_f64 v[86:87], v[90:91], s[14:15], v[30:31]
	v_fma_f64 v[30:31], v[90:91], s[16:17], v[30:31]
	v_add_f64 v[90:91], v[154:155], v[164:165]
	v_fma_f64 v[86:87], v[88:89], s[18:19], v[86:87]
	v_fma_f64 v[30:31], v[88:89], s[2:3], v[30:31]
	v_fma_f64 v[90:91], v[90:91], -0.5, v[24:25]
	v_add_f64 v[88:89], v[24:25], v[94:95]
	v_fma_f64 v[86:87], v[92:93], s[8:9], v[86:87]
	v_fma_f64 v[30:31], v[92:93], s[8:9], v[30:31]
	;; [unrolled: 1-line block ×4, first 2 shown]
	v_add_f64 v[88:89], v[88:89], v[154:155]
	v_fma_f64 v[92:93], v[104:105], s[2:3], v[92:93]
	v_fma_f64 v[90:91], v[104:105], s[18:19], v[90:91]
	v_add_f64 v[88:89], v[88:89], v[164:165]
	v_add_f64 v[164:165], v[160:161], -v[156:157]
	v_fma_f64 v[96:97], v[100:101], s[8:9], v[92:93]
	v_fma_f64 v[92:93], v[100:101], s[8:9], v[90:91]
	v_add_f64 v[90:91], v[94:95], v[166:167]
	v_add_f64 v[100:101], v[154:155], -v[94:95]
	v_add_f64 v[154:155], v[168:169], -v[162:163]
	v_add_f64 v[88:89], v[88:89], v[166:167]
	v_fma_f64 v[24:25], v[90:91], -0.5, v[24:25]
	v_add_f64 v[116:117], v[100:101], v[116:117]
	v_fma_f64 v[90:91], v[104:105], s[16:17], v[24:25]
	v_fma_f64 v[24:25], v[104:105], s[14:15], v[24:25]
	;; [unrolled: 1-line block ×4, first 2 shown]
	v_add_f64 v[98:99], v[106:107], v[108:109]
	v_fma_f64 v[100:101], v[116:117], s[8:9], v[90:91]
	v_fma_f64 v[24:25], v[116:117], s[8:9], v[24:25]
	v_fma_f64 v[104:105], v[98:99], -0.5, v[26:27]
	v_add_f64 v[116:117], v[94:95], -v[166:167]
	v_add_f64 v[98:99], v[102:103], -v[106:107]
	v_add_f64 v[90:91], v[26:27], v[102:103]
	v_add_f64 v[166:167], v[156:157], -v[160:161]
	v_fma_f64 v[94:95], v[116:117], s[16:17], v[104:105]
	v_add_f64 v[142:143], v[98:99], v[142:143]
	v_add_f64 v[90:91], v[90:91], v[106:107]
	v_fma_f64 v[94:95], v[140:141], s[18:19], v[94:95]
	v_add_f64 v[90:91], v[90:91], v[108:109]
	v_fma_f64 v[98:99], v[142:143], s[8:9], v[94:95]
	v_fma_f64 v[94:95], v[116:117], s[14:15], v[104:105]
	v_add_f64 v[104:105], v[102:103], v[112:113]
	v_add_f64 v[102:103], v[106:107], -v[102:103]
	v_add_f64 v[106:107], v[108:109], -v[112:113]
	v_add_f64 v[90:91], v[90:91], v[112:113]
	v_add_f64 v[112:113], v[110:111], -v[114:115]
	v_fma_f64 v[94:95], v[140:141], s[2:3], v[94:95]
	v_fma_f64 v[26:27], v[104:105], -0.5, v[26:27]
	v_add_f64 v[106:107], v[102:103], v[106:107]
	v_fma_f64 v[94:95], v[142:143], s[8:9], v[94:95]
	v_fma_f64 v[104:105], v[140:141], s[14:15], v[26:27]
	;; [unrolled: 1-line block ×3, first 2 shown]
	v_add_f64 v[140:141], v[118:119], -v[124:125]
	v_add_f64 v[142:143], v[120:121], -v[122:123]
	v_fma_f64 v[104:105], v[116:117], s[18:19], v[104:105]
	v_fma_f64 v[26:27], v[116:117], s[2:3], v[26:27]
	v_add_f64 v[116:117], v[132:133], -v[128:129]
	v_fma_f64 v[102:103], v[106:107], s[8:9], v[104:105]
	v_fma_f64 v[26:27], v[106:107], s[8:9], v[26:27]
	v_add_f64 v[106:107], v[114:115], v[128:129]
	v_add_f64 v[116:117], v[112:113], v[116:117]
	;; [unrolled: 1-line block ×3, first 2 shown]
	v_fma_f64 v[106:107], v[106:107], -0.5, v[20:21]
	v_add_f64 v[104:105], v[104:105], v[114:115]
	v_fma_f64 v[108:109], v[140:141], s[14:15], v[106:107]
	v_fma_f64 v[106:107], v[140:141], s[16:17], v[106:107]
	v_add_f64 v[104:105], v[104:105], v[128:129]
	v_add_f64 v[128:129], v[114:115], -v[128:129]
	v_fma_f64 v[108:109], v[142:143], s[2:3], v[108:109]
	v_fma_f64 v[106:107], v[142:143], s[18:19], v[106:107]
	v_add_f64 v[104:105], v[104:105], v[132:133]
	v_fma_f64 v[112:113], v[116:117], s[8:9], v[108:109]
	v_fma_f64 v[108:109], v[116:117], s[8:9], v[106:107]
	v_add_f64 v[106:107], v[110:111], v[132:133]
	v_add_f64 v[132:133], v[110:111], -v[132:133]
	v_add_f64 v[116:117], v[114:115], -v[110:111]
	;; [unrolled: 1-line block ×3, first 2 shown]
	v_fma_f64 v[20:21], v[106:107], -0.5, v[20:21]
	v_add_f64 v[152:153], v[116:117], v[152:153]
	v_fma_f64 v[106:107], v[142:143], s[16:17], v[20:21]
	v_fma_f64 v[20:21], v[142:143], s[14:15], v[20:21]
	v_add_f64 v[142:143], v[124:125], -v[122:123]
	v_fma_f64 v[106:107], v[140:141], s[2:3], v[106:107]
	v_fma_f64 v[20:21], v[140:141], s[18:19], v[20:21]
	v_add_f64 v[140:141], v[120:121], v[122:123]
	v_add_f64 v[142:143], v[114:115], v[142:143]
	v_fma_f64 v[116:117], v[152:153], s[8:9], v[106:107]
	v_add_f64 v[106:107], v[22:23], v[118:119]
	v_fma_f64 v[140:141], v[140:141], -0.5, v[22:23]
	v_fma_f64 v[20:21], v[152:153], s[8:9], v[20:21]
	v_add_f64 v[152:153], v[170:171], -v[172:173]
	v_add_f64 v[106:107], v[106:107], v[120:121]
	v_fma_f64 v[110:111], v[132:133], s[16:17], v[140:141]
	v_add_f64 v[106:107], v[106:107], v[122:123]
	v_fma_f64 v[110:111], v[128:129], s[18:19], v[110:111]
	;; [unrolled: 2-line block ×3, first 2 shown]
	v_fma_f64 v[110:111], v[132:133], s[14:15], v[140:141]
	v_add_f64 v[140:141], v[118:119], v[124:125]
	v_add_f64 v[118:119], v[120:121], -v[118:119]
	v_add_f64 v[120:121], v[122:123], -v[124:125]
	v_add_f64 v[122:123], v[130:131], v[170:171]
	v_fma_f64 v[110:111], v[128:129], s[2:3], v[110:111]
	v_fma_f64 v[22:23], v[140:141], -0.5, v[22:23]
	v_add_f64 v[120:121], v[118:119], v[120:121]
	v_fma_f64 v[122:123], v[122:123], -0.5, v[16:17]
	v_fma_f64 v[110:111], v[142:143], s[8:9], v[110:111]
	v_fma_f64 v[140:141], v[128:129], s[14:15], v[22:23]
	;; [unrolled: 1-line block ×3, first 2 shown]
	v_add_f64 v[142:143], v[158:159], -v[162:163]
	v_add_f64 v[128:129], v[126:127], -v[130:131]
	v_fma_f64 v[140:141], v[132:133], s[18:19], v[140:141]
	v_fma_f64 v[22:23], v[132:133], s[2:3], v[22:23]
	v_add_f64 v[132:133], v[172:173], -v[170:171]
	v_fma_f64 v[118:119], v[120:121], s[8:9], v[140:141]
	v_add_f64 v[140:141], v[134:135], -v[168:169]
	v_add_f64 v[132:133], v[128:129], v[132:133]
	v_fma_f64 v[22:23], v[120:121], s[8:9], v[22:23]
	v_add_f64 v[120:121], v[16:17], v[126:127]
	v_fma_f64 v[124:125], v[140:141], s[14:15], v[122:123]
	v_fma_f64 v[122:123], v[140:141], s[16:17], v[122:123]
	v_add_f64 v[120:121], v[120:121], v[130:131]
	v_fma_f64 v[124:125], v[142:143], s[2:3], v[124:125]
	;; [unrolled: 3-line block ×3, first 2 shown]
	v_fma_f64 v[124:125], v[132:133], s[8:9], v[122:123]
	v_add_f64 v[122:123], v[126:127], v[172:173]
	v_add_f64 v[132:133], v[130:131], -v[126:127]
	v_add_f64 v[120:121], v[120:121], v[172:173]
	v_fma_f64 v[16:17], v[122:123], -0.5, v[16:17]
	v_add_f64 v[152:153], v[132:133], v[152:153]
	v_fma_f64 v[122:123], v[142:143], s[16:17], v[16:17]
	v_fma_f64 v[16:17], v[142:143], s[14:15], v[16:17]
	v_add_f64 v[142:143], v[126:127], -v[172:173]
	v_fma_f64 v[122:123], v[140:141], s[2:3], v[122:123]
	v_fma_f64 v[16:17], v[140:141], s[18:19], v[16:17]
	v_add_f64 v[140:141], v[158:159], v[162:163]
	v_fma_f64 v[132:133], v[152:153], s[8:9], v[122:123]
	v_fma_f64 v[16:17], v[152:153], s[8:9], v[16:17]
	v_fma_f64 v[140:141], v[140:141], -0.5, v[18:19]
	v_add_f64 v[152:153], v[130:131], -v[170:171]
	v_add_f64 v[130:131], v[134:135], -v[158:159]
	v_add_f64 v[122:123], v[18:19], v[134:135]
	v_fma_f64 v[126:127], v[142:143], s[16:17], v[140:141]
	v_add_f64 v[154:155], v[130:131], v[154:155]
	v_add_f64 v[122:123], v[122:123], v[158:159]
	v_fma_f64 v[126:127], v[152:153], s[18:19], v[126:127]
	v_add_f64 v[122:123], v[122:123], v[162:163]
	v_fma_f64 v[130:131], v[154:155], s[8:9], v[126:127]
	v_fma_f64 v[126:127], v[142:143], s[14:15], v[140:141]
	v_add_f64 v[140:141], v[134:135], v[168:169]
	v_add_f64 v[134:135], v[158:159], -v[134:135]
	v_add_f64 v[158:159], v[148:149], -v[150:151]
	v_add_f64 v[122:123], v[122:123], v[168:169]
	v_fma_f64 v[126:127], v[152:153], s[2:3], v[126:127]
	v_fma_f64 v[18:19], v[140:141], -0.5, v[18:19]
	v_add_f64 v[158:159], v[158:159], v[164:165]
	v_add_f64 v[164:165], v[150:151], -v[148:149]
	v_fma_f64 v[126:127], v[154:155], s[8:9], v[126:127]
	v_fma_f64 v[140:141], v[152:153], s[14:15], v[18:19]
	v_add_f64 v[154:155], v[162:163], -v[168:169]
	v_fma_f64 v[18:19], v[152:153], s[16:17], v[18:19]
	v_add_f64 v[162:163], v[138:139], -v[144:145]
	v_add_f64 v[164:165], v[164:165], v[166:167]
	v_fma_f64 v[140:141], v[142:143], s[18:19], v[140:141]
	v_add_f64 v[154:155], v[134:135], v[154:155]
	v_fma_f64 v[18:19], v[142:143], s[2:3], v[18:19]
	;; [unrolled: 2-line block ×3, first 2 shown]
	v_fma_f64 v[18:19], v[154:155], s[8:9], v[18:19]
	v_fma_f64 v[142:143], v[142:143], -0.5, v[12:13]
	v_add_f64 v[154:155], v[136:137], -v[146:147]
	v_add_f64 v[140:141], v[12:13], v[148:149]
	v_fma_f64 v[152:153], v[154:155], s[14:15], v[142:143]
	v_fma_f64 v[142:143], v[154:155], s[16:17], v[142:143]
	v_add_f64 v[140:141], v[140:141], v[150:151]
	v_add_f64 v[150:151], v[150:151], -v[156:157]
	v_fma_f64 v[152:153], v[162:163], s[2:3], v[152:153]
	v_fma_f64 v[142:143], v[162:163], s[18:19], v[142:143]
	v_add_f64 v[140:141], v[140:141], v[156:157]
	v_add_f64 v[156:157], v[136:137], -v[138:139]
	v_fma_f64 v[152:153], v[158:159], s[8:9], v[152:153]
	v_fma_f64 v[158:159], v[158:159], s[8:9], v[142:143]
	v_add_f64 v[142:143], v[148:149], v[160:161]
	v_add_f64 v[140:141], v[140:141], v[160:161]
	v_add_f64 v[148:149], v[148:149], -v[160:161]
	v_add_f64 v[160:161], v[146:147], -v[144:145]
	v_fma_f64 v[142:143], v[142:143], -0.5, v[12:13]
	v_add_f64 v[156:157], v[156:157], v[160:161]
	v_fma_f64 v[12:13], v[162:163], s[16:17], v[142:143]
	v_fma_f64 v[142:143], v[162:163], s[14:15], v[142:143]
	;; [unrolled: 1-line block ×4, first 2 shown]
	v_add_f64 v[154:155], v[138:139], v[144:145]
	v_fma_f64 v[12:13], v[164:165], s[8:9], v[12:13]
	v_fma_f64 v[162:163], v[164:165], s[8:9], v[142:143]
	v_fma_f64 v[164:165], v[154:155], -0.5, v[14:15]
	v_add_f64 v[142:143], v[14:15], v[136:137]
	v_fma_f64 v[154:155], v[148:149], s[16:17], v[164:165]
	v_fma_f64 v[160:161], v[148:149], s[14:15], v[164:165]
	v_add_f64 v[142:143], v[142:143], v[138:139]
	v_fma_f64 v[154:155], v[150:151], s[18:19], v[154:155]
	v_fma_f64 v[160:161], v[150:151], s[2:3], v[160:161]
	;; [unrolled: 3-line block ×3, first 2 shown]
	v_add_f64 v[156:157], v[136:137], v[146:147]
	v_add_f64 v[136:137], v[138:139], -v[136:137]
	v_add_f64 v[138:139], v[144:145], -v[146:147]
	v_add_f64 v[142:143], v[142:143], v[146:147]
	v_fma_f64 v[156:157], v[156:157], -0.5, v[14:15]
	v_add_f64 v[136:137], v[136:137], v[138:139]
	v_fma_f64 v[14:15], v[150:151], s[14:15], v[156:157]
	v_fma_f64 v[138:139], v[150:151], s[16:17], v[156:157]
	s_mov_b32 s14, 0xe976ee23
	s_mov_b32 s15, 0x3fe11646
	;; [unrolled: 1-line block ×4, first 2 shown]
	v_fma_f64 v[14:15], v[148:149], s[18:19], v[14:15]
	v_fma_f64 v[138:139], v[148:149], s[2:3], v[138:139]
	s_movk_i32 s2, 0x7850
	s_mov_b32 s18, 0x5476071b
	s_mov_b32 s19, 0x3fe77f67
	;; [unrolled: 1-line block ×3, first 2 shown]
	v_fma_f64 v[14:15], v[136:137], s[8:9], v[14:15]
	v_fma_f64 v[164:165], v[136:137], s[8:9], v[138:139]
	ds_write_b128 v254, v[32:35]
	ds_write_b128 v254, v[40:43] offset:6160
	ds_write_b128 v254, v[48:51] offset:12320
	;; [unrolled: 1-line block ×34, first 2 shown]
	v_add_co_u32_e32 v26, vcc, s2, v208
	v_addc_co_u32_e32 v27, vcc, 0, v209, vcc
	s_movk_i32 s2, 0x7000
	v_add_co_u32_e32 v16, vcc, s2, v208
	v_addc_co_u32_e32 v17, vcc, 0, v209, vcc
	s_waitcnt lgkmcnt(0)
	; wave barrier
	s_waitcnt lgkmcnt(0)
	global_load_dwordx4 v[16:19], v[16:17], off offset:2128
	ds_read_b128 v[12:15], v254
	s_mov_b32 s2, 0x8000
	v_add_co_u32_e32 v38, vcc, s2, v208
	v_addc_co_u32_e32 v39, vcc, 0, v209, vcc
	s_mov_b32 s2, 0x9000
	v_add_co_u32_e32 v28, vcc, s2, v208
	v_addc_co_u32_e32 v29, vcc, 0, v209, vcc
	s_mov_b32 s2, 0xa000
	s_mov_b32 s8, 0x36b3c0b5
	;; [unrolled: 1-line block ×3, first 2 shown]
	s_waitcnt vmcnt(0) lgkmcnt(0)
	v_mul_f64 v[20:21], v[14:15], v[18:19]
	v_fma_f64 v[20:21], v[12:13], v[16:17], -v[20:21]
	v_mul_f64 v[12:13], v[12:13], v[18:19]
	v_fma_f64 v[22:23], v[14:15], v[16:17], v[12:13]
	global_load_dwordx4 v[16:19], v[38:39], off offset:2432
	ds_read_b128 v[12:15], v254 offset:4400
	ds_write_b128 v254, v[20:23]
	s_waitcnt vmcnt(0) lgkmcnt(1)
	v_mul_f64 v[20:21], v[14:15], v[18:19]
	v_fma_f64 v[20:21], v[12:13], v[16:17], -v[20:21]
	v_mul_f64 v[12:13], v[12:13], v[18:19]
	v_fma_f64 v[22:23], v[14:15], v[16:17], v[12:13]
	global_load_dwordx4 v[16:19], v[28:29], off offset:2736
	ds_read_b128 v[12:15], v254 offset:8800
	ds_write_b128 v254, v[20:23] offset:4400
	s_waitcnt vmcnt(0) lgkmcnt(1)
	v_mul_f64 v[20:21], v[14:15], v[18:19]
	v_fma_f64 v[20:21], v[12:13], v[16:17], -v[20:21]
	v_mul_f64 v[12:13], v[12:13], v[18:19]
	v_fma_f64 v[22:23], v[14:15], v[16:17], v[12:13]
	ds_read_b128 v[12:15], v254 offset:13200
	ds_write_b128 v254, v[20:23] offset:8800
	v_add_co_u32_e32 v22, vcc, s2, v208
	v_addc_co_u32_e32 v23, vcc, 0, v209, vcc
	global_load_dwordx4 v[16:19], v[22:23], off offset:3040
	s_mov_b32 s2, 0xb000
	v_add_co_u32_e32 v24, vcc, s2, v208
	v_addc_co_u32_e32 v25, vcc, 0, v209, vcc
	s_mov_b32 s2, 0xc000
	s_waitcnt vmcnt(0) lgkmcnt(1)
	v_mul_f64 v[20:21], v[14:15], v[18:19]
	v_fma_f64 v[30:31], v[12:13], v[16:17], -v[20:21]
	v_mul_f64 v[12:13], v[12:13], v[18:19]
	v_fma_f64 v[32:33], v[14:15], v[16:17], v[12:13]
	global_load_dwordx4 v[16:19], v[24:25], off offset:3344
	ds_read_b128 v[12:15], v254 offset:17600
	ds_write_b128 v254, v[30:33] offset:13200
	s_waitcnt vmcnt(0) lgkmcnt(1)
	v_mul_f64 v[20:21], v[14:15], v[18:19]
	v_fma_f64 v[30:31], v[12:13], v[16:17], -v[20:21]
	v_mul_f64 v[12:13], v[12:13], v[18:19]
	v_add_co_u32_e32 v18, vcc, s2, v208
	v_addc_co_u32_e32 v19, vcc, 0, v209, vcc
	s_mov_b32 s2, 0xd000
	v_fma_f64 v[32:33], v[14:15], v[16:17], v[12:13]
	ds_read_b128 v[12:15], v254 offset:22000
	ds_write_b128 v254, v[30:33] offset:17600
	global_load_dwordx4 v[30:33], v[18:19], off offset:3648
	s_waitcnt vmcnt(0) lgkmcnt(1)
	v_mul_f64 v[16:17], v[14:15], v[32:33]
	v_fma_f64 v[34:35], v[12:13], v[30:31], -v[16:17]
	v_mul_f64 v[12:13], v[12:13], v[32:33]
	v_add_co_u32_e32 v16, vcc, s2, v208
	v_addc_co_u32_e32 v17, vcc, 0, v209, vcc
	s_mov_b32 s2, 0xe000
	v_fma_f64 v[36:37], v[14:15], v[30:31], v[12:13]
	global_load_dwordx4 v[30:33], v[16:17], off offset:3952
	ds_read_b128 v[12:15], v254 offset:26400
	ds_write_b128 v254, v[34:37] offset:22000
	s_waitcnt vmcnt(0) lgkmcnt(1)
	v_mul_f64 v[20:21], v[14:15], v[32:33]
	v_fma_f64 v[34:35], v[12:13], v[30:31], -v[20:21]
	v_mul_f64 v[12:13], v[12:13], v[32:33]
	v_fma_f64 v[36:37], v[14:15], v[30:31], v[12:13]
	global_load_dwordx4 v[30:33], v[26:27], off offset:880
	ds_read_b128 v[12:15], v254 offset:880
	ds_write_b128 v254, v[34:37] offset:26400
	s_waitcnt vmcnt(0) lgkmcnt(1)
	v_mul_f64 v[20:21], v[14:15], v[32:33]
	v_fma_f64 v[34:35], v[12:13], v[30:31], -v[20:21]
	v_mul_f64 v[12:13], v[12:13], v[32:33]
	;; [unrolled: 8-line block ×7, first 2 shown]
	v_add_co_u32_e32 v20, vcc, s2, v208
	v_addc_co_u32_e32 v21, vcc, 0, v209, vcc
	s_mov_b32 s2, 0x429ad128
	s_mov_b32 s3, 0xbfebfeb5
	v_fma_f64 v[36:37], v[14:15], v[30:31], v[12:13]
	global_load_dwordx4 v[30:33], v[20:21], off offset:736
	ds_read_b128 v[12:15], v254 offset:27280
	ds_write_b128 v254, v[34:37] offset:22880
	s_waitcnt vmcnt(0) lgkmcnt(1)
	v_mul_f64 v[34:35], v[14:15], v[32:33]
	v_fma_f64 v[34:35], v[12:13], v[30:31], -v[34:35]
	v_mul_f64 v[12:13], v[12:13], v[32:33]
	v_fma_f64 v[36:37], v[14:15], v[30:31], v[12:13]
	global_load_dwordx4 v[30:33], v[26:27], off offset:1760
	ds_read_b128 v[12:15], v254 offset:1760
	ds_write_b128 v254, v[34:37] offset:27280
	s_waitcnt vmcnt(0) lgkmcnt(1)
	v_mul_f64 v[34:35], v[14:15], v[32:33]
	v_fma_f64 v[34:35], v[12:13], v[30:31], -v[34:35]
	v_mul_f64 v[12:13], v[12:13], v[32:33]
	;; [unrolled: 8-line block ×15, first 2 shown]
	v_fma_f64 v[36:37], v[14:15], v[30:31], v[12:13]
	global_load_dwordx4 v[30:33], v[26:27], off offset:3520
	ds_read_b128 v[12:15], v254 offset:3520
	ds_write_b128 v254, v[34:37] offset:29040
	s_waitcnt vmcnt(0) lgkmcnt(1)
	v_mul_f64 v[26:27], v[14:15], v[32:33]
	v_fma_f64 v[34:35], v[12:13], v[30:31], -v[26:27]
	global_load_dwordx4 v[26:29], v[28:29], off offset:1856
	v_mul_f64 v[12:13], v[12:13], v[32:33]
	v_fma_f64 v[36:37], v[14:15], v[30:31], v[12:13]
	ds_read_b128 v[12:15], v254 offset:7920
	ds_write_b128 v254, v[34:37] offset:3520
	s_waitcnt vmcnt(0) lgkmcnt(1)
	v_mul_f64 v[30:31], v[14:15], v[28:29]
	v_fma_f64 v[30:31], v[12:13], v[26:27], -v[30:31]
	v_mul_f64 v[12:13], v[12:13], v[28:29]
	v_fma_f64 v[32:33], v[14:15], v[26:27], v[12:13]
	global_load_dwordx4 v[26:29], v[22:23], off offset:2160
	ds_read_b128 v[12:15], v254 offset:12320
	ds_write_b128 v254, v[30:33] offset:7920
	s_waitcnt vmcnt(0) lgkmcnt(1)
	v_mul_f64 v[22:23], v[14:15], v[28:29]
	v_fma_f64 v[30:31], v[12:13], v[26:27], -v[22:23]
	global_load_dwordx4 v[22:25], v[24:25], off offset:2464
	v_mul_f64 v[12:13], v[12:13], v[28:29]
	v_fma_f64 v[32:33], v[14:15], v[26:27], v[12:13]
	ds_read_b128 v[12:15], v254 offset:16720
	ds_write_b128 v254, v[30:33] offset:12320
	s_waitcnt vmcnt(0) lgkmcnt(1)
	v_mul_f64 v[26:27], v[14:15], v[24:25]
	v_fma_f64 v[26:27], v[12:13], v[22:23], -v[26:27]
	v_mul_f64 v[12:13], v[12:13], v[24:25]
	;; [unrolled: 16-line block ×3, first 2 shown]
	v_fma_f64 v[24:25], v[14:15], v[16:17], v[12:13]
	global_load_dwordx4 v[16:19], v[20:21], off offset:3376
	ds_read_b128 v[12:15], v254 offset:29920
	ds_write_b128 v254, v[22:25] offset:25520
	s_waitcnt vmcnt(0) lgkmcnt(1)
	v_mul_f64 v[20:21], v[14:15], v[18:19]
	v_fma_f64 v[20:21], v[12:13], v[16:17], -v[20:21]
	v_mul_f64 v[12:13], v[12:13], v[18:19]
	v_fma_f64 v[22:23], v[14:15], v[16:17], v[12:13]
	ds_write_b128 v254, v[20:23] offset:29920
	s_waitcnt lgkmcnt(0)
	; wave barrier
	s_waitcnt lgkmcnt(0)
	ds_read_b128 v[20:23], v254
	ds_read_b128 v[24:27], v254 offset:4400
	ds_read_b128 v[28:31], v254 offset:8800
	;; [unrolled: 1-line block ×34, first 2 shown]
	s_waitcnt lgkmcnt(14)
	v_add_f64 v[140:141], v[24:25], v[44:45]
	v_add_f64 v[142:143], v[26:27], v[46:47]
	v_add_f64 v[24:25], v[24:25], -v[44:45]
	v_add_f64 v[26:27], v[26:27], -v[46:47]
	v_add_f64 v[44:45], v[28:29], v[40:41]
	v_add_f64 v[46:47], v[30:31], v[42:43]
	v_add_f64 v[28:29], v[28:29], -v[40:41]
	v_add_f64 v[30:31], v[30:31], -v[42:43]
	;; [unrolled: 4-line block ×4, first 2 shown]
	v_add_f64 v[140:141], v[140:141], -v[40:41]
	v_add_f64 v[142:143], v[142:143], -v[42:43]
	;; [unrolled: 1-line block ×4, first 2 shown]
	v_add_f64 v[160:161], v[32:33], v[28:29]
	v_add_f64 v[162:163], v[34:35], v[30:31]
	v_add_f64 v[164:165], v[32:33], -v[28:29]
	v_add_f64 v[166:167], v[34:35], -v[30:31]
	v_add_f64 v[36:37], v[40:41], v[36:37]
	v_add_f64 v[38:39], v[42:43], v[38:39]
	v_add_f64 v[32:33], v[24:25], -v[32:33]
	v_add_f64 v[34:35], v[26:27], -v[34:35]
	;; [unrolled: 1-line block ×4, first 2 shown]
	v_add_f64 v[24:25], v[160:161], v[24:25]
	v_add_f64 v[26:27], v[162:163], v[26:27]
	;; [unrolled: 1-line block ×4, first 2 shown]
	v_mul_f64 v[40:41], v[140:141], s[10:11]
	v_mul_f64 v[42:43], v[142:143], s[10:11]
	;; [unrolled: 1-line block ×8, first 2 shown]
	v_fma_f64 v[36:37], v[36:37], s[16:17], v[20:21]
	v_fma_f64 v[38:39], v[38:39], s[16:17], v[22:23]
	v_fma_f64 v[140:141], v[152:153], s[18:19], -v[140:141]
	v_fma_f64 v[142:143], v[154:155], s[18:19], -v[142:143]
	;; [unrolled: 1-line block ×4, first 2 shown]
	v_fma_f64 v[44:45], v[44:45], s[8:9], v[40:41]
	v_fma_f64 v[46:47], v[46:47], s[8:9], v[42:43]
	v_fma_f64 v[40:41], v[152:153], s[20:21], -v[40:41]
	v_fma_f64 v[42:43], v[154:155], s[20:21], -v[42:43]
	v_fma_f64 v[152:153], v[32:33], s[24:25], v[160:161]
	v_fma_f64 v[154:155], v[34:35], s[24:25], v[162:163]
	v_fma_f64 v[32:33], v[32:33], s[26:27], -v[164:165]
	v_fma_f64 v[34:35], v[34:35], s[26:27], -v[166:167]
	v_add_f64 v[140:141], v[140:141], v[36:37]
	v_add_f64 v[142:143], v[142:143], v[38:39]
	v_fma_f64 v[28:29], v[24:25], s[22:23], v[28:29]
	v_fma_f64 v[30:31], v[26:27], s[22:23], v[30:31]
	v_add_f64 v[160:161], v[44:45], v[36:37]
	v_add_f64 v[162:163], v[46:47], v[38:39]
	;; [unrolled: 1-line block ×4, first 2 shown]
	v_fma_f64 v[152:153], v[24:25], s[22:23], v[152:153]
	v_fma_f64 v[154:155], v[26:27], s[22:23], v[154:155]
	;; [unrolled: 1-line block ×4, first 2 shown]
	v_add_f64 v[36:37], v[140:141], -v[30:31]
	v_add_f64 v[38:39], v[28:29], v[142:143]
	v_add_f64 v[32:33], v[140:141], v[30:31]
	v_add_f64 v[34:35], v[142:143], -v[28:29]
	v_add_f64 v[140:141], v[88:89], v[92:93]
	v_add_f64 v[142:143], v[90:91], v[94:95]
	v_add_f64 v[88:89], v[88:89], -v[92:93]
	v_add_f64 v[90:91], v[90:91], -v[94:95]
	v_add_f64 v[92:93], v[80:81], v[84:85]
	v_add_f64 v[94:95], v[82:83], v[86:87]
	v_add_f64 v[80:81], v[80:81], -v[84:85]
	;; [unrolled: 4-line block ×3, first 2 shown]
	v_add_f64 v[74:75], v[78:79], -v[74:75]
	v_add_f64 v[76:77], v[92:93], v[140:141]
	v_add_f64 v[78:79], v[94:95], v[142:143]
	v_add_f64 v[44:45], v[160:161], v[154:155]
	v_add_f64 v[46:47], v[162:163], -v[152:153]
	v_add_f64 v[40:41], v[164:165], v[26:27]
	v_add_f64 v[42:43], v[166:167], -v[24:25]
	v_add_f64 v[28:29], v[164:165], -v[26:27]
	v_add_f64 v[30:31], v[24:25], v[166:167]
	v_add_f64 v[24:25], v[160:161], -v[154:155]
	v_add_f64 v[26:27], v[152:153], v[162:163]
	v_add_f64 v[152:153], v[92:93], -v[140:141]
	v_add_f64 v[154:155], v[94:95], -v[142:143]
	;; [unrolled: 1-line block ×6, first 2 shown]
	v_add_f64 v[160:161], v[72:73], v[80:81]
	v_add_f64 v[162:163], v[74:75], v[82:83]
	v_add_f64 v[164:165], v[72:73], -v[80:81]
	v_add_f64 v[166:167], v[74:75], -v[82:83]
	v_add_f64 v[76:77], v[84:85], v[76:77]
	v_add_f64 v[78:79], v[86:87], v[78:79]
	v_add_f64 v[72:73], v[88:89], -v[72:73]
	v_add_f64 v[74:75], v[90:91], -v[74:75]
	;; [unrolled: 1-line block ×4, first 2 shown]
	v_add_f64 v[84:85], v[160:161], v[88:89]
	v_add_f64 v[86:87], v[162:163], v[90:91]
	;; [unrolled: 1-line block ×4, first 2 shown]
	v_mul_f64 v[88:89], v[140:141], s[10:11]
	v_mul_f64 v[90:91], v[142:143], s[10:11]
	;; [unrolled: 1-line block ×8, first 2 shown]
	v_fma_f64 v[76:77], v[76:77], s[16:17], v[68:69]
	v_fma_f64 v[78:79], v[78:79], s[16:17], v[70:71]
	v_fma_f64 v[140:141], v[152:153], s[18:19], -v[140:141]
	v_fma_f64 v[142:143], v[154:155], s[18:19], -v[142:143]
	;; [unrolled: 1-line block ×4, first 2 shown]
	v_fma_f64 v[92:93], v[92:93], s[8:9], v[88:89]
	v_fma_f64 v[94:95], v[94:95], s[8:9], v[90:91]
	v_fma_f64 v[88:89], v[152:153], s[20:21], -v[88:89]
	v_fma_f64 v[90:91], v[154:155], s[20:21], -v[90:91]
	v_fma_f64 v[152:153], v[72:73], s[24:25], v[160:161]
	v_fma_f64 v[154:155], v[74:75], s[24:25], v[162:163]
	v_fma_f64 v[72:73], v[72:73], s[26:27], -v[164:165]
	v_fma_f64 v[74:75], v[74:75], s[26:27], -v[166:167]
	v_add_f64 v[140:141], v[140:141], v[76:77]
	v_add_f64 v[142:143], v[142:143], v[78:79]
	v_fma_f64 v[164:165], v[84:85], s[22:23], v[80:81]
	v_fma_f64 v[80:81], v[86:87], s[22:23], v[82:83]
	;; [unrolled: 1-line block ×6, first 2 shown]
	v_add_f64 v[160:161], v[92:93], v[76:77]
	v_add_f64 v[162:163], v[94:95], v[78:79]
	;; [unrolled: 1-line block ×3, first 2 shown]
	v_add_f64 v[84:85], v[140:141], -v[80:81]
	v_add_f64 v[80:81], v[140:141], v[80:81]
	v_add_f64 v[82:83], v[142:143], -v[164:165]
	v_add_f64 v[140:141], v[116:117], v[120:121]
	v_add_f64 v[142:143], v[118:119], v[122:123]
	v_add_f64 v[116:117], v[116:117], -v[120:121]
	v_add_f64 v[118:119], v[118:119], -v[122:123]
	v_add_f64 v[120:121], v[108:109], v[112:113]
	v_add_f64 v[122:123], v[110:111], v[114:115]
	;; [unrolled: 1-line block ×4, first 2 shown]
	v_add_f64 v[108:109], v[108:109], -v[112:113]
	v_add_f64 v[110:111], v[110:111], -v[114:115]
	v_add_f64 v[112:113], v[100:101], v[104:105]
	v_add_f64 v[114:115], v[102:103], v[106:107]
	v_add_f64 v[100:101], v[104:105], -v[100:101]
	v_add_f64 v[102:103], v[106:107], -v[102:103]
	v_add_f64 v[104:105], v[120:121], v[140:141]
	v_add_f64 v[106:107], v[122:123], v[142:143]
	;; [unrolled: 1-line block ×3, first 2 shown]
	v_add_f64 v[94:95], v[162:163], -v[152:153]
	v_add_f64 v[88:89], v[76:77], v[74:75]
	v_add_f64 v[90:91], v[78:79], -v[72:73]
	v_add_f64 v[76:77], v[76:77], -v[74:75]
	v_add_f64 v[78:79], v[72:73], v[78:79]
	v_add_f64 v[72:73], v[160:161], -v[154:155]
	v_add_f64 v[74:75], v[152:153], v[162:163]
	v_add_f64 v[152:153], v[120:121], -v[140:141]
	v_add_f64 v[154:155], v[122:123], -v[142:143]
	;; [unrolled: 1-line block ×6, first 2 shown]
	v_add_f64 v[160:161], v[100:101], v[108:109]
	v_add_f64 v[162:163], v[102:103], v[110:111]
	v_add_f64 v[164:165], v[100:101], -v[108:109]
	v_add_f64 v[166:167], v[102:103], -v[110:111]
	;; [unrolled: 1-line block ×4, first 2 shown]
	v_add_f64 v[104:105], v[112:113], v[104:105]
	v_add_f64 v[106:107], v[114:115], v[106:107]
	v_add_f64 v[100:101], v[116:117], -v[100:101]
	v_add_f64 v[102:103], v[118:119], -v[102:103]
	v_add_f64 v[112:113], v[160:161], v[116:117]
	v_add_f64 v[114:115], v[162:163], v[118:119]
	v_mul_f64 v[116:117], v[140:141], s[10:11]
	v_mul_f64 v[118:119], v[142:143], s[10:11]
	v_add_f64 v[96:97], v[96:97], v[104:105]
	v_add_f64 v[98:99], v[98:99], v[106:107]
	v_mul_f64 v[140:141], v[120:121], s[8:9]
	v_mul_f64 v[142:143], v[122:123], s[8:9]
	;; [unrolled: 1-line block ×6, first 2 shown]
	v_fma_f64 v[104:105], v[104:105], s[16:17], v[96:97]
	v_fma_f64 v[106:107], v[106:107], s[16:17], v[98:99]
	;; [unrolled: 1-line block ×4, first 2 shown]
	v_fma_f64 v[140:141], v[152:153], s[18:19], -v[140:141]
	v_fma_f64 v[142:143], v[154:155], s[18:19], -v[142:143]
	;; [unrolled: 1-line block ×4, first 2 shown]
	v_fma_f64 v[152:153], v[100:101], s[24:25], v[160:161]
	v_fma_f64 v[154:155], v[102:103], s[24:25], v[162:163]
	v_fma_f64 v[108:109], v[108:109], s[2:3], -v[160:161]
	v_fma_f64 v[110:111], v[110:111], s[2:3], -v[162:163]
	;; [unrolled: 1-line block ×4, first 2 shown]
	v_add_f64 v[160:161], v[120:121], v[104:105]
	v_add_f64 v[162:163], v[122:123], v[106:107]
	;; [unrolled: 1-line block ×6, first 2 shown]
	v_fma_f64 v[152:153], v[112:113], s[22:23], v[152:153]
	v_fma_f64 v[154:155], v[114:115], s[22:23], v[154:155]
	;; [unrolled: 1-line block ×6, first 2 shown]
	s_waitcnt lgkmcnt(0)
	; wave barrier
	s_waitcnt lgkmcnt(0)
	v_add_f64 v[122:123], v[162:163], -v[152:153]
	v_add_f64 v[120:121], v[160:161], v[154:155]
	v_add_f64 v[114:115], v[164:165], v[142:143]
	v_add_f64 v[112:113], v[140:141], -v[108:109]
	v_add_f64 v[118:119], v[106:107], -v[100:101]
	v_add_f64 v[116:117], v[104:105], v[102:103]
	v_add_f64 v[108:109], v[140:141], v[108:109]
	v_add_f64 v[110:111], v[142:143], -v[164:165]
	v_add_f64 v[104:105], v[104:105], -v[102:103]
	v_add_f64 v[106:107], v[100:101], v[106:107]
	v_add_f64 v[100:101], v[160:161], -v[154:155]
	v_add_f64 v[102:103], v[152:153], v[162:163]
	v_add_f64 v[140:141], v[148:149], v[156:157]
	;; [unrolled: 1-line block ×5, first 2 shown]
	v_add_f64 v[150:151], v[150:151], -v[158:159]
	v_add_f64 v[136:137], v[136:137], -v[144:145]
	;; [unrolled: 1-line block ×3, first 2 shown]
	v_add_f64 v[144:145], v[128:129], v[132:133]
	v_add_f64 v[146:147], v[130:131], v[134:135]
	v_add_f64 v[128:129], v[132:133], -v[128:129]
	v_add_f64 v[130:131], v[134:135], -v[130:131]
	v_add_f64 v[132:133], v[152:153], v[140:141]
	v_add_f64 v[134:135], v[154:155], v[142:143]
	v_add_f64 v[148:149], v[148:149], -v[156:157]
	v_add_f64 v[156:157], v[152:153], -v[140:141]
	;; [unrolled: 1-line block ×7, first 2 shown]
	v_add_f64 v[160:161], v[128:129], v[136:137]
	v_add_f64 v[162:163], v[130:131], v[138:139]
	v_add_f64 v[164:165], v[128:129], -v[136:137]
	v_add_f64 v[166:167], v[130:131], -v[138:139]
	;; [unrolled: 1-line block ×3, first 2 shown]
	v_add_f64 v[132:133], v[144:145], v[132:133]
	v_add_f64 v[134:135], v[146:147], v[134:135]
	v_add_f64 v[128:129], v[148:149], -v[128:129]
	v_add_f64 v[130:131], v[150:151], -v[130:131]
	;; [unrolled: 1-line block ×3, first 2 shown]
	v_add_f64 v[144:145], v[160:161], v[148:149]
	v_add_f64 v[146:147], v[162:163], v[150:151]
	v_mul_f64 v[140:141], v[140:141], s[10:11]
	v_add_f64 v[124:125], v[124:125], v[132:133]
	v_add_f64 v[126:127], v[126:127], v[134:135]
	v_mul_f64 v[142:143], v[142:143], s[10:11]
	v_mul_f64 v[148:149], v[152:153], s[8:9]
	;; [unrolled: 1-line block ×7, first 2 shown]
	v_fma_f64 v[132:133], v[132:133], s[16:17], v[124:125]
	v_fma_f64 v[134:135], v[134:135], s[16:17], v[126:127]
	;; [unrolled: 1-line block ×4, first 2 shown]
	v_fma_f64 v[148:149], v[156:157], s[18:19], -v[148:149]
	v_fma_f64 v[150:151], v[158:159], s[18:19], -v[150:151]
	;; [unrolled: 1-line block ×4, first 2 shown]
	v_fma_f64 v[156:157], v[128:129], s[24:25], v[160:161]
	v_fma_f64 v[158:159], v[130:131], s[24:25], v[162:163]
	v_fma_f64 v[130:131], v[130:131], s[26:27], -v[166:167]
	v_fma_f64 v[136:137], v[136:137], s[2:3], -v[160:161]
	;; [unrolled: 1-line block ×3, first 2 shown]
	v_add_f64 v[152:153], v[152:153], v[132:133]
	v_add_f64 v[154:155], v[154:155], v[134:135]
	;; [unrolled: 1-line block ×4, first 2 shown]
	v_fma_f64 v[140:141], v[144:145], s[22:23], v[156:157]
	v_fma_f64 v[130:131], v[146:147], s[22:23], v[130:131]
	v_fma_f64 v[138:139], v[138:139], s[2:3], -v[162:163]
	v_add_f64 v[162:163], v[150:151], v[134:135]
	v_add_f64 v[134:135], v[142:143], v[134:135]
	v_fma_f64 v[142:143], v[146:147], s[22:23], v[158:159]
	v_fma_f64 v[128:129], v[144:145], s[22:23], v[128:129]
	;; [unrolled: 1-line block ×3, first 2 shown]
	v_add_f64 v[158:159], v[154:155], -v[140:141]
	v_add_f64 v[148:149], v[132:133], v[130:131]
	v_add_f64 v[132:133], v[132:133], -v[130:131]
	v_add_f64 v[130:131], v[140:141], v[154:155]
	v_add_f64 v[140:141], v[60:61], v[64:65]
	v_add_f64 v[60:61], v[60:61], -v[64:65]
	v_add_f64 v[64:65], v[52:53], v[56:57]
	v_fma_f64 v[136:137], v[146:147], s[22:23], v[138:139]
	v_add_f64 v[156:157], v[152:153], v[142:143]
	v_add_f64 v[150:151], v[134:135], -v[128:129]
	v_add_f64 v[134:135], v[128:129], v[134:135]
	v_add_f64 v[128:129], v[152:153], -v[142:143]
	;; [unrolled: 2-line block ×4, first 2 shown]
	v_add_f64 v[54:55], v[54:55], -v[58:59]
	v_add_f64 v[56:57], v[16:17], v[48:49]
	v_add_f64 v[58:59], v[18:19], v[50:51]
	v_add_f64 v[16:17], v[48:49], -v[16:17]
	v_add_f64 v[18:19], v[50:51], -v[18:19]
	v_add_f64 v[48:49], v[64:65], v[140:141]
	v_add_f64 v[144:145], v[160:161], -v[136:137]
	v_add_f64 v[146:147], v[164:165], v[162:163]
	v_add_f64 v[136:137], v[160:161], v[136:137]
	v_add_f64 v[138:139], v[162:163], -v[164:165]
	v_add_f64 v[152:153], v[64:65], -v[140:141]
	;; [unrolled: 1-line block ×4, first 2 shown]
	v_add_f64 v[160:161], v[16:17], v[52:53]
	v_add_f64 v[162:163], v[18:19], v[54:55]
	v_add_f64 v[164:165], v[16:17], -v[52:53]
	v_add_f64 v[166:167], v[18:19], -v[54:55]
	v_add_f64 v[56:57], v[56:57], v[48:49]
	v_add_f64 v[16:17], v[60:61], -v[16:17]
	v_add_f64 v[18:19], v[62:63], -v[18:19]
	v_add_f64 v[52:53], v[52:53], -v[60:61]
	v_add_f64 v[54:55], v[54:55], -v[62:63]
	v_add_f64 v[60:61], v[160:161], v[60:61]
	v_add_f64 v[62:63], v[162:163], v[62:63]
	v_mul_f64 v[160:161], v[164:165], s[14:15]
	v_add_f64 v[48:49], v[12:13], v[56:57]
	v_mul_f64 v[12:13], v[140:141], s[10:11]
	v_mul_f64 v[140:141], v[64:65], s[8:9]
	;; [unrolled: 1-line block ×5, first 2 shown]
	v_add_f64 v[50:51], v[66:67], v[142:143]
	v_fma_f64 v[52:53], v[52:53], s[2:3], -v[160:161]
	v_fma_f64 v[56:57], v[56:57], s[16:17], v[48:49]
	v_fma_f64 v[64:65], v[64:65], s[8:9], v[12:13]
	v_fma_f64 v[140:141], v[152:153], s[18:19], -v[140:141]
	v_fma_f64 v[54:55], v[54:55], s[2:3], -v[162:163]
	;; [unrolled: 1-line block ×3, first 2 shown]
	v_fma_f64 v[152:153], v[16:17], s[24:25], v[160:161]
	v_fma_f64 v[16:17], v[16:17], s[26:27], -v[164:165]
	v_fma_f64 v[164:165], v[60:61], s[22:23], v[52:53]
	v_add_f64 v[154:155], v[66:67], -v[142:143]
	v_add_f64 v[160:161], v[64:65], v[56:57]
	v_add_f64 v[140:141], v[140:141], v[56:57]
	v_fma_f64 v[52:53], v[62:63], s[22:23], v[54:55]
	v_add_f64 v[12:13], v[12:13], v[56:57]
	v_add_f64 v[142:143], v[142:143], -v[58:59]
	v_add_f64 v[66:67], v[58:59], -v[66:67]
	v_add_f64 v[58:59], v[58:59], v[50:51]
	v_fma_f64 v[152:153], v[60:61], s[22:23], v[152:153]
	v_fma_f64 v[16:17], v[60:61], s[22:23], v[16:17]
	v_add_f64 v[56:57], v[140:141], -v[52:53]
	v_add_f64 v[52:53], v[140:141], v[52:53]
	buffer_load_dword v140, off, s[44:47], 0 offset:1220 ; 4-byte Folded Reload
	s_waitcnt vmcnt(0)
	ds_write_b128 v140, v[20:23]
	ds_write_b128 v140, v[44:47] offset:16
	ds_write_b128 v140, v[40:43] offset:32
	ds_write_b128 v140, v[36:39] offset:48
	ds_write_b128 v140, v[32:35] offset:64
	ds_write_b128 v140, v[28:31] offset:80
	ds_write_b128 v140, v[24:27] offset:96
	buffer_load_dword v20, off, s[44:47], 0 offset:1024 ; 4-byte Folded Reload
	s_waitcnt vmcnt(0)
	ds_write_b128 v20, v[68:71]
	ds_write_b128 v20, v[92:95] offset:16
	ds_write_b128 v20, v[88:91] offset:32
	ds_write_b128 v20, v[84:87] offset:48
	ds_write_b128 v20, v[80:83] offset:64
	ds_write_b128 v20, v[76:79] offset:80
	ds_write_b128 v20, v[72:75] offset:96
	;; [unrolled: 9-line block ×4, first 2 shown]
	buffer_load_dword v20, off, s[44:47], 0 offset:740 ; 4-byte Folded Reload
	v_add_f64 v[50:51], v[14:15], v[58:59]
	v_mul_f64 v[14:15], v[142:143], s[10:11]
	v_mul_f64 v[142:143], v[66:67], s[8:9]
	v_fma_f64 v[58:59], v[58:59], s[16:17], v[50:51]
	v_fma_f64 v[66:67], v[66:67], s[8:9], v[14:15]
	v_fma_f64 v[142:143], v[154:155], s[18:19], -v[142:143]
	v_fma_f64 v[14:15], v[154:155], s[20:21], -v[14:15]
	v_fma_f64 v[154:155], v[18:19], s[24:25], v[162:163]
	v_fma_f64 v[18:19], v[18:19], s[26:27], -v[166:167]
	v_add_f64 v[162:163], v[66:67], v[58:59]
	v_add_f64 v[142:143], v[142:143], v[58:59]
	;; [unrolled: 1-line block ×3, first 2 shown]
	v_fma_f64 v[154:155], v[62:63], s[22:23], v[154:155]
	v_fma_f64 v[18:19], v[62:63], s[22:23], v[18:19]
	v_add_f64 v[66:67], v[162:163], -v[152:153]
	v_add_f64 v[58:59], v[164:165], v[142:143]
	v_add_f64 v[62:63], v[14:15], -v[16:17]
	v_add_f64 v[64:65], v[160:161], v[154:155]
	v_add_f64 v[60:61], v[12:13], v[18:19]
	v_add_f64 v[54:55], v[142:143], -v[164:165]
	v_add_f64 v[12:13], v[12:13], -v[18:19]
	v_add_f64 v[14:15], v[16:17], v[14:15]
	v_add_f64 v[16:17], v[160:161], -v[154:155]
	v_add_f64 v[18:19], v[152:153], v[162:163]
	s_waitcnt vmcnt(0)
	ds_write_b128 v20, v[48:51]
	ds_write_b128 v20, v[64:67] offset:16
	ds_write_b128 v20, v[60:63] offset:32
	;; [unrolled: 1-line block ×6, first 2 shown]
	s_waitcnt lgkmcnt(0)
	; wave barrier
	s_waitcnt lgkmcnt(0)
	ds_read_b128 v[32:35], v254
	ds_read_b128 v[156:159], v254 offset:2800
	ds_read_b128 v[148:151], v254 offset:5600
	ds_read_b128 v[144:147], v254 offset:8400
	ds_read_b128 v[136:139], v254 offset:11200
	ds_read_b128 v[132:135], v254 offset:14000
	ds_read_b128 v[128:131], v254 offset:16800
	ds_read_b128 v[124:127], v254 offset:19600
	ds_read_b128 v[120:123], v254 offset:22400
	ds_read_b128 v[116:119], v254 offset:25200
	ds_read_b128 v[100:103], v254 offset:28000
	ds_read_b128 v[28:31], v254 offset:880
	ds_read_b128 v[104:107], v254 offset:3680
	ds_read_b128 v[112:115], v254 offset:6480
	ds_read_b128 v[108:111], v254 offset:9280
	ds_read_b128 v[96:99], v254 offset:12080
	ds_read_b128 v[84:87], v254 offset:14880
	ds_read_b128 v[92:95], v254 offset:17680
	ds_read_b128 v[88:91], v254 offset:20480
	ds_read_b128 v[80:83], v254 offset:23280
	ds_read_b128 v[72:75], v254 offset:26080
	ds_read_b128 v[76:79], v254 offset:28880
	ds_read_b128 v[20:23], v254 offset:1760
	ds_read_b128 v[68:71], v254 offset:4560
	ds_read_b128 v[60:63], v254 offset:7360
	ds_read_b128 v[64:67], v254 offset:10160
	ds_read_b128 v[56:59], v254 offset:12960
	ds_read_b128 v[48:51], v254 offset:15760
	ds_read_b128 v[52:55], v254 offset:18560
	ds_read_b128 v[44:47], v254 offset:21360
	ds_read_b128 v[36:39], v254 offset:24160
	ds_read_b128 v[40:43], v254 offset:26960
	ds_read_b128 v[24:27], v254 offset:29760
	s_and_saveexec_b64 s[2:3], s[0:1]
	s_cbranch_execz .LBB0_7
; %bb.6:
	ds_read_b128 v[12:15], v254 offset:2640
	ds_read_b128 v[16:19], v254 offset:5440
	;; [unrolled: 1-line block ×3, first 2 shown]
	s_waitcnt lgkmcnt(0)
	buffer_store_dword v140, off, s[44:47], 0 offset:36 ; 4-byte Folded Spill
	s_nop 0
	buffer_store_dword v141, off, s[44:47], 0 offset:40 ; 4-byte Folded Spill
	buffer_store_dword v142, off, s[44:47], 0 offset:44 ; 4-byte Folded Spill
	buffer_store_dword v143, off, s[44:47], 0 offset:48 ; 4-byte Folded Spill
	ds_read_b128 v[140:143], v254 offset:11040
	s_waitcnt lgkmcnt(0)
	buffer_store_dword v140, off, s[44:47], 0 offset:68 ; 4-byte Folded Spill
	s_nop 0
	buffer_store_dword v141, off, s[44:47], 0 offset:72 ; 4-byte Folded Spill
	buffer_store_dword v142, off, s[44:47], 0 offset:76 ; 4-byte Folded Spill
	buffer_store_dword v143, off, s[44:47], 0 offset:80 ; 4-byte Folded Spill
	ds_read_b128 v[140:143], v254 offset:13840
	;; [unrolled: 7-line block ×8, first 2 shown]
	s_waitcnt lgkmcnt(0)
	buffer_store_dword v140, off, s[44:47], 0 offset:20 ; 4-byte Folded Spill
	s_nop 0
	buffer_store_dword v141, off, s[44:47], 0 offset:24 ; 4-byte Folded Spill
	buffer_store_dword v142, off, s[44:47], 0 offset:28 ; 4-byte Folded Spill
	buffer_store_dword v143, off, s[44:47], 0 offset:32 ; 4-byte Folded Spill
.LBB0_7:
	s_or_b64 exec, exec, s[2:3]
	buffer_load_dword v152, off, s[44:47], 0 offset:840 ; 4-byte Folded Reload
	buffer_load_dword v153, off, s[44:47], 0 offset:844 ; 4-byte Folded Reload
	;; [unrolled: 1-line block ×4, first 2 shown]
	s_mov_b32 s8, 0xf8bb580b
	s_mov_b32 s2, 0x8764f0ba
	;; [unrolled: 1-line block ×30, first 2 shown]
	s_waitcnt vmcnt(0) lgkmcnt(14)
	v_mul_f64 v[140:141], v[154:155], v[158:159]
	v_fma_f64 v[172:173], v[152:153], v[156:157], v[140:141]
	v_mul_f64 v[140:141], v[154:155], v[156:157]
	v_fma_f64 v[158:159], v[152:153], v[158:159], -v[140:141]
	buffer_load_dword v152, off, s[44:47], 0 offset:824 ; 4-byte Folded Reload
	buffer_load_dword v153, off, s[44:47], 0 offset:828 ; 4-byte Folded Reload
	;; [unrolled: 1-line block ×4, first 2 shown]
	s_waitcnt vmcnt(0)
	v_mul_f64 v[140:141], v[154:155], v[150:151]
	v_fma_f64 v[174:175], v[152:153], v[148:149], v[140:141]
	v_mul_f64 v[140:141], v[154:155], v[148:149]
	v_fma_f64 v[176:177], v[152:153], v[150:151], -v[140:141]
	buffer_load_dword v148, off, s[44:47], 0 offset:792 ; 4-byte Folded Reload
	buffer_load_dword v149, off, s[44:47], 0 offset:796 ; 4-byte Folded Reload
	buffer_load_dword v150, off, s[44:47], 0 offset:800 ; 4-byte Folded Reload
	buffer_load_dword v151, off, s[44:47], 0 offset:804 ; 4-byte Folded Reload
	s_waitcnt vmcnt(0)
	v_mul_f64 v[140:141], v[150:151], v[146:147]
	v_mul_f64 v[142:143], v[150:151], v[144:145]
	v_fma_f64 v[178:179], v[148:149], v[144:145], v[140:141]
	v_fma_f64 v[180:181], v[148:149], v[146:147], -v[142:143]
	buffer_load_dword v144, off, s[44:47], 0 offset:744 ; 4-byte Folded Reload
	buffer_load_dword v145, off, s[44:47], 0 offset:748 ; 4-byte Folded Reload
	;; [unrolled: 1-line block ×4, first 2 shown]
	s_waitcnt vmcnt(0)
	v_mul_f64 v[140:141], v[146:147], v[138:139]
	v_mul_f64 v[142:143], v[146:147], v[136:137]
	buffer_load_dword v146, off, s[44:47], 0 offset:876 ; 4-byte Folded Reload
	buffer_load_dword v147, off, s[44:47], 0 offset:880 ; 4-byte Folded Reload
	;; [unrolled: 1-line block ×8, first 2 shown]
	v_fma_f64 v[164:165], v[144:145], v[136:137], v[140:141]
	v_fma_f64 v[166:167], v[144:145], v[138:139], -v[142:143]
	s_waitcnt vmcnt(4)
	v_mul_f64 v[136:137], v[148:149], v[134:135]
	v_mul_f64 v[140:141], v[148:149], v[132:133]
	buffer_load_dword v148, off, s[44:47], 0 offset:776 ; 4-byte Folded Reload
	buffer_load_dword v149, off, s[44:47], 0 offset:780 ; 4-byte Folded Reload
	;; [unrolled: 1-line block ×4, first 2 shown]
	s_waitcnt vmcnt(4)
	v_mul_f64 v[138:139], v[170:171], v[130:131]
	v_fma_f64 v[152:153], v[146:147], v[132:133], v[136:137]
	v_fma_f64 v[160:161], v[146:147], v[134:135], -v[140:141]
	buffer_load_dword v144, off, s[44:47], 0 offset:760 ; 4-byte Folded Reload
	buffer_load_dword v145, off, s[44:47], 0 offset:764 ; 4-byte Folded Reload
	;; [unrolled: 1-line block ×12, first 2 shown]
	v_mul_f64 v[132:133], v[170:171], v[128:129]
	v_fma_f64 v[154:155], v[168:169], v[128:129], v[138:139]
	v_fma_f64 v[162:163], v[168:169], v[130:131], -v[132:133]
	s_waitcnt vmcnt(12)
	v_mul_f64 v[134:135], v[150:151], v[124:125]
	v_mul_f64 v[128:129], v[150:151], v[126:127]
	s_waitcnt vmcnt(8)
	v_mul_f64 v[136:137], v[146:147], v[122:123]
	v_mul_f64 v[138:139], v[146:147], v[120:121]
	;; [unrolled: 3-line block ×3, first 2 shown]
	s_waitcnt vmcnt(0)
	v_mul_f64 v[130:131], v[194:195], v[102:103]
	v_fma_f64 v[170:171], v[148:149], v[126:127], -v[134:135]
	v_fma_f64 v[168:169], v[148:149], v[124:125], v[128:129]
	v_fma_f64 v[182:183], v[144:145], v[120:121], v[136:137]
	v_fma_f64 v[184:185], v[144:145], v[122:123], -v[138:139]
	v_fma_f64 v[186:187], v[188:189], v[116:117], v[140:141]
	v_fma_f64 v[188:189], v[188:189], v[118:119], -v[142:143]
	buffer_load_dword v142, off, s[44:47], 0 offset:976 ; 4-byte Folded Reload
	buffer_load_dword v143, off, s[44:47], 0 offset:980 ; 4-byte Folded Reload
	;; [unrolled: 1-line block ×12, first 2 shown]
	v_fma_f64 v[190:191], v[192:193], v[100:101], v[130:131]
	buffer_load_dword v128, off, s[44:47], 0 offset:908 ; 4-byte Folded Reload
	buffer_load_dword v129, off, s[44:47], 0 offset:912 ; 4-byte Folded Reload
	;; [unrolled: 1-line block ×4, first 2 shown]
	v_mul_f64 v[116:117], v[194:195], v[100:101]
	v_fma_f64 v[192:193], v[192:193], v[102:103], -v[116:117]
	s_waitcnt vmcnt(12)
	v_mul_f64 v[100:101], v[144:145], v[106:107]
	v_mul_f64 v[118:119], v[144:145], v[104:105]
	s_waitcnt vmcnt(8)
	v_mul_f64 v[120:121], v[138:139], v[114:115]
	v_mul_f64 v[122:123], v[138:139], v[112:113]
	;; [unrolled: 3-line block ×3, first 2 shown]
	s_waitcnt vmcnt(0)
	v_mul_f64 v[116:117], v[130:131], v[98:99]
	buffer_load_dword v144, off, s[44:47], 0 offset:1028 ; 4-byte Folded Reload
	buffer_load_dword v145, off, s[44:47], 0 offset:1032 ; 4-byte Folded Reload
	;; [unrolled: 1-line block ×4, first 2 shown]
	v_fma_f64 v[140:141], v[142:143], v[104:105], v[100:101]
	v_fma_f64 v[142:143], v[142:143], v[106:107], -v[118:119]
	v_fma_f64 v[106:107], v[136:137], v[112:113], v[120:121]
	v_fma_f64 v[112:113], v[136:137], v[114:115], -v[122:123]
	;; [unrolled: 2-line block ×3, first 2 shown]
	v_mul_f64 v[108:109], v[130:131], v[96:97]
	buffer_load_dword v134, off, s[44:47], 0 offset:1008 ; 4-byte Folded Reload
	buffer_load_dword v135, off, s[44:47], 0 offset:1012 ; 4-byte Folded Reload
	;; [unrolled: 1-line block ×12, first 2 shown]
	v_fma_f64 v[100:101], v[128:129], v[96:97], v[116:117]
	v_fma_f64 v[98:99], v[128:129], v[98:99], -v[108:109]
	s_waitcnt vmcnt(12)
	v_mul_f64 v[96:97], v[146:147], v[86:87]
	v_mul_f64 v[110:111], v[146:147], v[84:85]
	s_waitcnt vmcnt(8)
	v_mul_f64 v[114:115], v[136:137], v[94:95]
	v_mul_f64 v[116:117], v[136:137], v[92:93]
	;; [unrolled: 3-line block ×3, first 2 shown]
	s_waitcnt vmcnt(0) lgkmcnt(13)
	v_mul_f64 v[108:109], v[124:125], v[82:83]
	v_fma_f64 v[84:85], v[144:145], v[84:85], v[96:97]
	v_fma_f64 v[96:97], v[144:145], v[86:87], -v[110:111]
	v_add_f64 v[110:111], v[32:33], v[172:173]
	v_fma_f64 v[86:87], v[134:135], v[92:93], v[114:115]
	v_fma_f64 v[92:93], v[134:135], v[94:95], -v[116:117]
	v_fma_f64 v[88:89], v[130:131], v[88:89], v[118:119]
	v_fma_f64 v[90:91], v[130:131], v[90:91], -v[120:121]
	v_mul_f64 v[94:95], v[124:125], v[80:81]
	buffer_load_dword v128, off, s[44:47], 0 offset:1060 ; 4-byte Folded Reload
	buffer_load_dword v129, off, s[44:47], 0 offset:1064 ; 4-byte Folded Reload
	;; [unrolled: 1-line block ×12, first 2 shown]
	v_fma_f64 v[80:81], v[122:123], v[80:81], v[108:109]
	v_add_f64 v[114:115], v[34:35], v[158:159]
	v_fma_f64 v[82:83], v[122:123], v[82:83], -v[94:95]
	s_waitcnt vmcnt(8) lgkmcnt(12)
	v_mul_f64 v[108:109], v[130:131], v[74:75]
	s_waitcnt vmcnt(4) lgkmcnt(11)
	v_mul_f64 v[118:119], v[126:127], v[78:79]
	v_mul_f64 v[120:121], v[126:127], v[76:77]
	;; [unrolled: 1-line block ×3, first 2 shown]
	buffer_load_dword v130, off, s[44:47], 0 offset:1108 ; 4-byte Folded Reload
	buffer_load_dword v131, off, s[44:47], 0 offset:1112 ; 4-byte Folded Reload
	;; [unrolled: 1-line block ×4, first 2 shown]
	s_waitcnt vmcnt(4) lgkmcnt(9)
	v_mul_f64 v[122:123], v[136:137], v[70:71]
	v_fma_f64 v[94:95], v[128:129], v[72:73], v[108:109]
	v_fma_f64 v[76:77], v[124:125], v[76:77], v[118:119]
	v_fma_f64 v[78:79], v[124:125], v[78:79], -v[120:121]
	buffer_load_dword v124, off, s[44:47], 0 offset:1092 ; 4-byte Folded Reload
	buffer_load_dword v125, off, s[44:47], 0 offset:1096 ; 4-byte Folded Reload
	;; [unrolled: 1-line block ×4, first 2 shown]
	v_add_f64 v[72:73], v[110:111], v[174:175]
	v_add_f64 v[110:111], v[114:115], v[176:177]
	v_fma_f64 v[114:115], v[128:129], v[74:75], -v[116:117]
	v_fma_f64 v[108:109], v[134:135], v[68:69], v[122:123]
	v_mul_f64 v[74:75], v[136:137], v[68:69]
	v_add_f64 v[72:73], v[72:73], v[178:179]
	v_add_f64 v[116:117], v[110:111], v[180:181]
	v_fma_f64 v[110:111], v[134:135], v[70:71], -v[74:75]
	s_waitcnt vmcnt(4) lgkmcnt(8)
	v_mul_f64 v[118:119], v[132:133], v[60:61]
	v_mul_f64 v[68:69], v[132:133], v[62:63]
	s_waitcnt vmcnt(0) lgkmcnt(7)
	v_mul_f64 v[120:121], v[126:127], v[66:67]
	v_mul_f64 v[122:123], v[126:127], v[64:65]
	buffer_load_dword v126, off, s[44:47], 0 offset:1076 ; 4-byte Folded Reload
	buffer_load_dword v127, off, s[44:47], 0 offset:1080 ; 4-byte Folded Reload
	;; [unrolled: 1-line block ×4, first 2 shown]
	v_fma_f64 v[146:147], v[130:131], v[62:63], -v[118:119]
	v_fma_f64 v[144:145], v[130:131], v[60:61], v[68:69]
	v_add_f64 v[60:61], v[72:73], v[164:165]
	v_add_f64 v[68:69], v[116:117], v[166:167]
	v_fma_f64 v[132:133], v[124:125], v[64:65], v[120:121]
	buffer_load_dword v118, off, s[44:47], 0 offset:1188 ; 4-byte Folded Reload
	buffer_load_dword v119, off, s[44:47], 0 offset:1192 ; 4-byte Folded Reload
	;; [unrolled: 1-line block ×4, first 2 shown]
	v_fma_f64 v[134:135], v[124:125], v[66:67], -v[122:123]
	v_add_f64 v[60:61], v[60:61], v[152:153]
	v_add_f64 v[64:65], v[68:69], v[160:161]
	s_waitcnt vmcnt(4) lgkmcnt(6)
	v_mul_f64 v[70:71], v[128:129], v[58:59]
	v_mul_f64 v[62:63], v[128:129], v[56:57]
	buffer_load_dword v128, off, s[44:47], 0 offset:1172 ; 4-byte Folded Reload
	buffer_load_dword v129, off, s[44:47], 0 offset:1176 ; 4-byte Folded Reload
	;; [unrolled: 1-line block ×8, first 2 shown]
	s_waitcnt vmcnt(8) lgkmcnt(5)
	v_mul_f64 v[66:67], v[120:121], v[48:49]
	v_fma_f64 v[124:125], v[126:127], v[56:57], v[70:71]
	v_mul_f64 v[56:57], v[120:121], v[50:51]
	v_fma_f64 v[126:127], v[126:127], v[58:59], -v[62:63]
	v_fma_f64 v[120:121], v[118:119], v[50:51], -v[66:67]
	v_fma_f64 v[116:117], v[118:119], v[48:49], v[56:57]
	v_add_f64 v[48:49], v[60:61], v[154:155]
	buffer_load_dword v60, off, s[44:47], 0 offset:1140 ; 4-byte Folded Reload
	buffer_load_dword v61, off, s[44:47], 0 offset:1144 ; 4-byte Folded Reload
	;; [unrolled: 1-line block ×4, first 2 shown]
	v_add_f64 v[56:57], v[64:65], v[162:163]
	v_add_f64 v[48:49], v[48:49], v[168:169]
	s_waitcnt vmcnt(8) lgkmcnt(4)
	v_mul_f64 v[68:69], v[130:131], v[54:55]
	v_mul_f64 v[70:71], v[130:131], v[52:53]
	s_waitcnt vmcnt(4) lgkmcnt(3)
	v_mul_f64 v[58:59], v[74:75], v[46:47]
	v_mul_f64 v[50:51], v[74:75], v[44:45]
	v_fma_f64 v[118:119], v[128:129], v[52:53], v[68:69]
	v_fma_f64 v[122:123], v[128:129], v[54:55], -v[70:71]
	v_fma_f64 v[128:129], v[72:73], v[44:45], v[58:59]
	buffer_load_dword v66, off, s[44:47], 0 offset:1224 ; 4-byte Folded Reload
	buffer_load_dword v67, off, s[44:47], 0 offset:1228 ; 4-byte Folded Reload
	buffer_load_dword v68, off, s[44:47], 0 offset:1232 ; 4-byte Folded Reload
	buffer_load_dword v69, off, s[44:47], 0 offset:1236 ; 4-byte Folded Reload
	v_add_f64 v[52:53], v[56:57], v[170:171]
	v_fma_f64 v[130:131], v[72:73], v[46:47], -v[50:51]
	s_waitcnt vmcnt(4) lgkmcnt(2)
	v_mul_f64 v[44:45], v[62:63], v[38:39]
	v_mul_f64 v[54:55], v[62:63], v[36:37]
	buffer_load_dword v62, off, s[44:47], 0 offset:1204 ; 4-byte Folded Reload
	buffer_load_dword v63, off, s[44:47], 0 offset:1208 ; 4-byte Folded Reload
	;; [unrolled: 1-line block ×4, first 2 shown]
	s_waitcnt lgkmcnt(0)
	; wave barrier
	s_waitcnt lgkmcnt(0)
	v_fma_f64 v[136:137], v[60:61], v[36:37], v[44:45]
	v_add_f64 v[36:37], v[48:49], v[182:183]
	v_add_f64 v[44:45], v[52:53], v[184:185]
	v_fma_f64 v[138:139], v[60:61], v[38:39], -v[54:55]
	v_add_f64 v[38:39], v[158:159], -v[192:193]
	v_add_f64 v[36:37], v[36:37], v[186:187]
	v_mul_f64 v[50:51], v[38:39], s[14:15]
	v_mul_f64 v[60:61], v[38:39], s[18:19]
	s_waitcnt vmcnt(4)
	v_mul_f64 v[56:57], v[68:69], v[42:43]
	v_mul_f64 v[58:59], v[68:69], v[40:41]
	s_waitcnt vmcnt(0)
	v_mul_f64 v[46:47], v[64:65], v[26:27]
	v_fma_f64 v[148:149], v[66:67], v[40:41], v[56:57]
	v_fma_f64 v[150:151], v[66:67], v[42:43], -v[58:59]
	v_add_f64 v[40:41], v[44:45], v[188:189]
	v_add_f64 v[42:43], v[172:173], v[190:191]
	v_mul_f64 v[44:45], v[38:39], s[8:9]
	v_mul_f64 v[66:67], v[38:39], s[22:23]
	;; [unrolled: 1-line block ×3, first 2 shown]
	v_fma_f64 v[156:157], v[62:63], v[24:25], v[46:47]
	v_mul_f64 v[24:25], v[64:65], v[24:25]
	v_add_f64 v[46:47], v[158:159], v[192:193]
	v_fma_f64 v[56:57], v[42:43], s[10:11], v[50:51]
	v_fma_f64 v[50:51], v[42:43], s[10:11], -v[50:51]
	v_fma_f64 v[72:73], v[42:43], s[20:21], v[66:67]
	v_fma_f64 v[66:67], v[42:43], s[20:21], -v[66:67]
	v_fma_f64 v[158:159], v[62:63], v[26:27], -v[24:25]
	v_add_f64 v[24:25], v[36:37], v[190:191]
	v_add_f64 v[36:37], v[172:173], -v[190:191]
	v_mul_f64 v[48:49], v[46:47], s[2:3]
	v_mul_f64 v[52:53], v[46:47], s[10:11]
	;; [unrolled: 1-line block ×5, first 2 shown]
	v_add_f64 v[172:173], v[176:177], -v[188:189]
	v_add_f64 v[26:27], v[40:41], v[192:193]
	v_fma_f64 v[40:41], v[42:43], s[2:3], v[44:45]
	v_add_f64 v[176:177], v[176:177], v[188:189]
	v_fma_f64 v[188:189], v[42:43], s[24:25], v[38:39]
	v_add_f64 v[192:193], v[174:175], v[186:187]
	v_add_f64 v[174:175], v[174:175], -v[186:187]
	v_fma_f64 v[190:191], v[36:37], s[34:35], v[46:47]
	v_mul_f64 v[186:187], v[172:173], s[14:15]
	v_fma_f64 v[54:55], v[36:37], s[28:29], v[48:49]
	v_fma_f64 v[44:45], v[42:43], s[2:3], -v[44:45]
	v_add_f64 v[40:41], v[32:33], v[40:41]
	v_fma_f64 v[48:49], v[36:37], s[8:9], v[48:49]
	v_fma_f64 v[58:59], v[36:37], s[36:37], v[52:53]
	;; [unrolled: 1-line block ×5, first 2 shown]
	v_fma_f64 v[60:61], v[42:43], s[16:17], -v[60:61]
	v_fma_f64 v[64:65], v[36:37], s[18:19], v[64:65]
	v_fma_f64 v[74:75], v[36:37], s[38:39], v[68:69]
	;; [unrolled: 1-line block ×3, first 2 shown]
	v_mul_f64 v[194:195], v[176:177], s[10:11]
	v_fma_f64 v[38:39], v[42:43], s[24:25], -v[38:39]
	v_fma_f64 v[36:37], v[36:37], s[26:27], v[46:47]
	v_add_f64 v[42:43], v[32:33], v[188:189]
	v_add_f64 v[46:47], v[34:35], v[190:191]
	v_mul_f64 v[188:189], v[172:173], s[22:23]
	v_mul_f64 v[190:191], v[176:177], s[20:21]
	v_fma_f64 v[196:197], v[192:193], s[10:11], v[186:187]
	v_add_f64 v[54:55], v[34:35], v[54:55]
	v_add_f64 v[44:45], v[32:33], v[44:45]
	;; [unrolled: 1-line block ×15, first 2 shown]
	v_fma_f64 v[198:199], v[174:175], s[36:37], v[194:195]
	v_add_f64 v[32:33], v[32:33], v[38:39]
	v_add_f64 v[34:35], v[34:35], v[36:37]
	v_fma_f64 v[36:37], v[192:193], s[10:11], -v[186:187]
	v_fma_f64 v[38:39], v[174:175], s[14:15], v[194:195]
	v_fma_f64 v[186:187], v[192:193], s[20:21], v[188:189]
	;; [unrolled: 1-line block ×3, first 2 shown]
	v_add_f64 v[40:41], v[196:197], v[40:41]
	v_mul_f64 v[196:197], v[172:173], s[34:35]
	v_add_f64 v[54:55], v[198:199], v[54:55]
	v_mul_f64 v[198:199], v[176:177], s[24:25]
	v_add_f64 v[36:37], v[36:37], v[44:45]
	v_add_f64 v[38:39], v[38:39], v[48:49]
	;; [unrolled: 1-line block ×4, first 2 shown]
	v_fma_f64 v[56:57], v[192:193], s[20:21], -v[188:189]
	v_fma_f64 v[58:59], v[174:175], s[22:23], v[190:191]
	v_fma_f64 v[186:187], v[192:193], s[24:25], v[196:197]
	v_mul_f64 v[190:191], v[172:173], s[30:31]
	v_fma_f64 v[188:189], v[174:175], s[26:27], v[198:199]
	v_mul_f64 v[194:195], v[176:177], s[16:17]
	v_mul_f64 v[172:173], v[172:173], s[28:29]
	;; [unrolled: 1-line block ×3, first 2 shown]
	v_add_f64 v[50:51], v[56:57], v[50:51]
	v_add_f64 v[52:53], v[58:59], v[52:53]
	;; [unrolled: 1-line block ×3, first 2 shown]
	v_fma_f64 v[62:63], v[192:193], s[16:17], v[190:191]
	v_add_f64 v[58:59], v[188:189], v[70:71]
	v_fma_f64 v[70:71], v[174:175], s[18:19], v[194:195]
	v_fma_f64 v[186:187], v[192:193], s[16:17], -v[190:191]
	v_fma_f64 v[198:199], v[174:175], s[34:35], v[198:199]
	v_fma_f64 v[188:189], v[174:175], s[30:31], v[194:195]
	v_fma_f64 v[196:197], v[192:193], s[24:25], -v[196:197]
	v_add_f64 v[62:63], v[62:63], v[72:73]
	v_add_f64 v[72:73], v[180:181], -v[184:185]
	v_add_f64 v[70:71], v[70:71], v[74:75]
	v_add_f64 v[74:75], v[180:181], v[184:185]
	;; [unrolled: 1-line block ×3, first 2 shown]
	v_fma_f64 v[180:181], v[192:193], s[2:3], v[172:173]
	v_fma_f64 v[184:185], v[174:175], s[8:9], v[176:177]
	v_add_f64 v[186:187], v[178:179], v[182:183]
	v_add_f64 v[178:179], v[178:179], -v[182:183]
	v_mul_f64 v[182:183], v[72:73], s[18:19]
	v_fma_f64 v[172:173], v[192:193], s[2:3], -v[172:173]
	v_fma_f64 v[174:175], v[174:175], s[28:29], v[176:177]
	v_mul_f64 v[176:177], v[72:73], s[34:35]
	v_add_f64 v[68:69], v[188:189], v[68:69]
	v_mul_f64 v[188:189], v[74:75], s[16:17]
	v_add_f64 v[42:43], v[180:181], v[42:43]
	v_add_f64 v[46:47], v[184:185], v[46:47]
	v_mul_f64 v[180:181], v[74:75], s[24:25]
	v_fma_f64 v[184:185], v[186:187], s[16:17], v[182:183]
	v_add_f64 v[32:33], v[172:173], v[32:33]
	v_fma_f64 v[172:173], v[186:187], s[16:17], -v[182:183]
	v_fma_f64 v[182:183], v[186:187], s[24:25], v[176:177]
	v_fma_f64 v[190:191], v[178:179], s[30:31], v[188:189]
	v_add_f64 v[34:35], v[174:175], v[34:35]
	v_fma_f64 v[174:175], v[178:179], s[18:19], v[188:189]
	v_fma_f64 v[188:189], v[178:179], s[26:27], v[180:181]
	v_add_f64 v[40:41], v[184:185], v[40:41]
	v_mul_f64 v[184:185], v[72:73], s[36:37]
	v_add_f64 v[36:37], v[172:173], v[36:37]
	v_add_f64 v[44:45], v[182:183], v[44:45]
	v_fma_f64 v[172:173], v[186:187], s[24:25], -v[176:177]
	v_mul_f64 v[182:183], v[72:73], s[8:9]
	v_add_f64 v[54:55], v[190:191], v[54:55]
	v_mul_f64 v[190:191], v[74:75], s[10:11]
	v_add_f64 v[38:39], v[174:175], v[38:39]
	v_add_f64 v[48:49], v[188:189], v[48:49]
	v_fma_f64 v[174:175], v[178:179], s[34:35], v[180:181]
	v_fma_f64 v[176:177], v[186:187], s[10:11], v[184:185]
	v_mul_f64 v[188:189], v[74:75], s[2:3]
	v_add_f64 v[50:51], v[172:173], v[50:51]
	v_fma_f64 v[172:173], v[186:187], s[2:3], v[182:183]
	v_fma_f64 v[180:181], v[178:179], s[14:15], v[190:191]
	v_mul_f64 v[72:73], v[72:73], s[22:23]
	v_mul_f64 v[74:75], v[74:75], s[20:21]
	v_add_f64 v[52:53], v[174:175], v[52:53]
	v_add_f64 v[56:57], v[176:177], v[56:57]
	v_fma_f64 v[174:175], v[178:179], s[28:29], v[188:189]
	v_fma_f64 v[176:177], v[186:187], s[2:3], -v[182:183]
	v_add_f64 v[62:63], v[172:173], v[62:63]
	v_add_f64 v[172:173], v[166:167], -v[170:171]
	v_add_f64 v[58:59], v[180:181], v[58:59]
	v_fma_f64 v[180:181], v[178:179], s[8:9], v[188:189]
	v_add_f64 v[166:167], v[166:167], v[170:171]
	v_fma_f64 v[170:171], v[186:187], s[20:21], v[72:73]
	;; [unrolled: 2-line block ×3, first 2 shown]
	v_add_f64 v[66:67], v[176:177], v[66:67]
	v_add_f64 v[176:177], v[164:165], v[168:169]
	v_add_f64 v[164:165], v[164:165], -v[168:169]
	v_mul_f64 v[168:169], v[172:173], s[22:23]
	v_fma_f64 v[190:191], v[178:179], s[36:37], v[190:191]
	v_add_f64 v[68:69], v[180:181], v[68:69]
	v_mul_f64 v[180:181], v[166:167], s[20:21]
	v_add_f64 v[42:43], v[170:171], v[42:43]
	v_add_f64 v[46:47], v[174:175], v[46:47]
	v_fma_f64 v[72:73], v[186:187], s[20:21], -v[72:73]
	v_fma_f64 v[74:75], v[178:179], s[22:23], v[74:75]
	v_mul_f64 v[170:171], v[172:173], s[30:31]
	v_mul_f64 v[174:175], v[166:167], s[16:17]
	v_fma_f64 v[178:179], v[176:177], s[20:21], v[168:169]
	v_fma_f64 v[168:169], v[176:177], s[20:21], -v[168:169]
	v_add_f64 v[60:61], v[196:197], v[60:61]
	v_fma_f64 v[184:185], v[186:187], s[10:11], -v[184:185]
	v_fma_f64 v[182:183], v[164:165], s[38:39], v[180:181]
	v_fma_f64 v[180:181], v[164:165], s[22:23], v[180:181]
	v_add_f64 v[32:33], v[72:73], v[32:33]
	v_add_f64 v[34:35], v[74:75], v[34:35]
	v_fma_f64 v[72:73], v[176:177], s[16:17], v[170:171]
	v_fma_f64 v[74:75], v[164:165], s[18:19], v[174:175]
	v_add_f64 v[36:37], v[168:169], v[36:37]
	v_mul_f64 v[168:169], v[172:173], s[8:9]
	v_add_f64 v[60:61], v[184:185], v[60:61]
	v_add_f64 v[38:39], v[180:181], v[38:39]
	;; [unrolled: 1-line block ×3, first 2 shown]
	v_mul_f64 v[178:179], v[166:167], s[2:3]
	v_add_f64 v[72:73], v[72:73], v[44:45]
	v_add_f64 v[74:75], v[74:75], v[48:49]
	v_fma_f64 v[44:45], v[176:177], s[16:17], -v[170:171]
	v_fma_f64 v[48:49], v[164:165], s[30:31], v[174:175]
	v_mul_f64 v[170:171], v[172:173], s[26:27]
	v_mul_f64 v[174:175], v[166:167], s[24:25]
	v_fma_f64 v[180:181], v[176:177], s[2:3], v[168:169]
	v_fma_f64 v[168:169], v[176:177], s[2:3], -v[168:169]
	v_mul_f64 v[166:167], v[166:167], s[10:11]
	v_add_f64 v[54:55], v[182:183], v[54:55]
	v_add_f64 v[184:185], v[44:45], v[50:51]
	;; [unrolled: 1-line block ×3, first 2 shown]
	v_fma_f64 v[44:45], v[176:177], s[24:25], v[170:171]
	v_fma_f64 v[48:49], v[164:165], s[34:35], v[174:175]
	v_mul_f64 v[50:51], v[172:173], s[36:37]
	v_add_f64 v[60:61], v[168:169], v[60:61]
	v_add_f64 v[168:169], v[160:161], -v[162:163]
	v_add_f64 v[160:161], v[160:161], v[162:163]
	v_fma_f64 v[182:183], v[164:165], s[28:29], v[178:179]
	v_fma_f64 v[178:179], v[164:165], s[8:9], v[178:179]
	v_add_f64 v[62:63], v[44:45], v[62:63]
	v_add_f64 v[70:71], v[48:49], v[70:71]
	v_fma_f64 v[44:45], v[176:177], s[24:25], -v[170:171]
	v_fma_f64 v[48:49], v[164:165], s[26:27], v[174:175]
	v_fma_f64 v[162:163], v[176:177], s[10:11], v[50:51]
	;; [unrolled: 1-line block ×3, first 2 shown]
	v_fma_f64 v[50:51], v[176:177], s[10:11], -v[50:51]
	v_fma_f64 v[164:165], v[164:165], s[36:37], v[166:167]
	v_add_f64 v[166:167], v[152:153], v[154:155]
	v_add_f64 v[152:153], v[152:153], -v[154:155]
	v_mul_f64 v[154:155], v[168:169], s[26:27]
	v_mul_f64 v[172:173], v[160:161], s[24:25]
	v_add_f64 v[64:65], v[198:199], v[64:65]
	v_add_f64 v[68:69], v[48:49], v[68:69]
	;; [unrolled: 1-line block ×6, first 2 shown]
	v_fma_f64 v[32:33], v[166:167], s[24:25], v[154:155]
	v_fma_f64 v[34:35], v[152:153], s[34:35], v[172:173]
	v_fma_f64 v[42:43], v[166:167], s[24:25], -v[154:155]
	v_fma_f64 v[48:49], v[152:153], s[26:27], v[172:173]
	v_add_f64 v[154:155], v[30:31], v[142:143]
	v_mul_f64 v[172:173], v[168:169], s[28:29]
	v_mul_f64 v[176:177], v[160:161], s[2:3]
	v_add_f64 v[64:65], v[190:191], v[64:65]
	v_add_f64 v[66:67], v[44:45], v[66:67]
	v_add_f64 v[170:171], v[170:171], v[46:47]
	v_add_f64 v[44:45], v[32:33], v[40:41]
	v_add_f64 v[46:47], v[34:35], v[54:55]
	v_add_f64 v[32:33], v[42:43], v[36:37]
	v_add_f64 v[34:35], v[48:49], v[38:39]
	v_add_f64 v[36:37], v[50:51], v[106:107]
	v_add_f64 v[38:39], v[154:155], v[112:113]
	v_fma_f64 v[40:41], v[166:167], s[2:3], v[172:173]
	v_fma_f64 v[42:43], v[152:153], s[8:9], v[176:177]
	v_mul_f64 v[54:55], v[168:169], s[22:23]
	v_mul_f64 v[154:155], v[160:161], s[20:21]
	v_add_f64 v[56:57], v[180:181], v[56:57]
	v_add_f64 v[58:59], v[182:183], v[58:59]
	;; [unrolled: 1-line block ×3, first 2 shown]
	v_fma_f64 v[172:173], v[166:167], s[2:3], -v[172:173]
	v_fma_f64 v[176:177], v[152:153], s[28:29], v[176:177]
	v_add_f64 v[178:179], v[36:37], v[102:103]
	v_add_f64 v[180:181], v[38:39], v[104:105]
	;; [unrolled: 1-line block ×4, first 2 shown]
	v_fma_f64 v[40:41], v[166:167], s[20:21], v[54:55]
	v_fma_f64 v[42:43], v[152:153], s[38:39], v[154:155]
	;; [unrolled: 1-line block ×3, first 2 shown]
	v_add_f64 v[36:37], v[172:173], v[184:185]
	v_add_f64 v[38:39], v[176:177], v[52:53]
	;; [unrolled: 1-line block ×4, first 2 shown]
	v_fma_f64 v[172:173], v[166:167], s[20:21], -v[54:55]
	v_add_f64 v[52:53], v[40:41], v[56:57]
	v_add_f64 v[54:55], v[42:43], v[58:59]
	v_mul_f64 v[56:57], v[168:169], s[36:37]
	v_mul_f64 v[58:59], v[160:161], s[10:11]
	v_add_f64 v[42:43], v[154:155], v[64:65]
	v_mul_f64 v[154:155], v[168:169], s[18:19]
	v_add_f64 v[72:73], v[72:73], v[84:85]
	v_add_f64 v[74:75], v[74:75], v[96:97]
	v_add_f64 v[40:41], v[172:173], v[60:61]
	v_mul_f64 v[160:161], v[160:161], s[16:17]
	v_fma_f64 v[60:61], v[166:167], s[10:11], v[56:57]
	v_fma_f64 v[64:65], v[152:153], s[14:15], v[58:59]
	v_fma_f64 v[56:57], v[166:167], s[10:11], -v[56:57]
	v_fma_f64 v[168:169], v[166:167], s[16:17], v[154:155]
	v_add_f64 v[72:73], v[72:73], v[86:87]
	v_add_f64 v[74:75], v[74:75], v[92:93]
	v_fma_f64 v[58:59], v[152:153], s[36:37], v[58:59]
	v_fma_f64 v[172:173], v[152:153], s[30:31], v[160:161]
	v_add_f64 v[60:61], v[60:61], v[62:63]
	v_add_f64 v[62:63], v[64:65], v[70:71]
	;; [unrolled: 1-line block ×4, first 2 shown]
	v_add_f64 v[162:163], v[142:143], -v[78:79]
	v_add_f64 v[142:143], v[142:143], v[78:79]
	v_add_f64 v[70:71], v[72:73], v[88:89]
	;; [unrolled: 1-line block ×3, first 2 shown]
	v_fma_f64 v[74:75], v[152:153], s[18:19], v[160:161]
	v_add_f64 v[152:153], v[140:141], v[76:77]
	v_add_f64 v[140:141], v[140:141], -v[76:77]
	v_add_f64 v[58:59], v[58:59], v[68:69]
	v_mul_f64 v[180:181], v[162:163], s[22:23]
	v_mul_f64 v[182:183], v[142:143], s[20:21]
	v_add_f64 v[66:67], v[172:173], v[170:171]
	v_add_f64 v[68:69], v[70:71], v[80:81]
	;; [unrolled: 1-line block ×3, first 2 shown]
	v_fma_f64 v[72:73], v[166:167], s[16:17], -v[154:155]
	v_mul_f64 v[154:155], v[162:163], s[8:9]
	v_add_f64 v[74:75], v[74:75], v[164:165]
	v_mul_f64 v[164:165], v[162:163], s[14:15]
	v_mul_f64 v[172:173], v[162:163], s[18:19]
	v_fma_f64 v[184:185], v[152:153], s[20:21], v[180:181]
	v_fma_f64 v[186:187], v[140:141], s[38:39], v[182:183]
	v_fma_f64 v[180:181], v[152:153], s[20:21], -v[180:181]
	v_fma_f64 v[182:183], v[140:141], s[22:23], v[182:183]
	v_mul_f64 v[162:163], v[162:163], s[26:27]
	v_mul_f64 v[160:161], v[142:143], s[2:3]
	v_add_f64 v[68:69], v[68:69], v[94:95]
	v_add_f64 v[70:71], v[70:71], v[114:115]
	;; [unrolled: 1-line block ×3, first 2 shown]
	v_mul_f64 v[166:167], v[142:143], s[10:11]
	v_mul_f64 v[174:175], v[142:143], s[16:17]
	;; [unrolled: 1-line block ×3, first 2 shown]
	v_add_f64 v[188:189], v[112:113], -v[114:115]
	v_add_f64 v[112:113], v[112:113], v[114:115]
	v_add_f64 v[114:115], v[28:29], v[180:181]
	;; [unrolled: 1-line block ×3, first 2 shown]
	v_fma_f64 v[182:183], v[152:153], s[24:25], v[162:163]
	v_fma_f64 v[168:169], v[152:153], s[2:3], v[154:155]
	;; [unrolled: 1-line block ×3, first 2 shown]
	v_add_f64 v[68:69], v[68:69], v[76:77]
	v_add_f64 v[70:71], v[70:71], v[78:79]
	v_fma_f64 v[76:77], v[152:153], s[2:3], -v[154:155]
	v_fma_f64 v[78:79], v[140:141], s[8:9], v[160:161]
	v_fma_f64 v[154:155], v[152:153], s[10:11], v[164:165]
	;; [unrolled: 1-line block ×3, first 2 shown]
	v_fma_f64 v[164:165], v[152:153], s[10:11], -v[164:165]
	v_fma_f64 v[166:167], v[140:141], s[14:15], v[166:167]
	v_fma_f64 v[176:177], v[152:153], s[16:17], v[172:173]
	;; [unrolled: 1-line block ×3, first 2 shown]
	v_fma_f64 v[172:173], v[152:153], s[16:17], -v[172:173]
	v_fma_f64 v[174:175], v[140:141], s[18:19], v[174:175]
	v_fma_f64 v[190:191], v[140:141], s[34:35], v[142:143]
	v_add_f64 v[192:193], v[106:107], v[94:95]
	v_add_f64 v[94:95], v[106:107], -v[94:95]
	v_mul_f64 v[106:107], v[188:189], s[14:15]
	v_mul_f64 v[194:195], v[112:113], s[10:11]
	v_fma_f64 v[152:153], v[152:153], s[24:25], -v[162:163]
	v_fma_f64 v[140:141], v[140:141], s[26:27], v[142:143]
	v_add_f64 v[142:143], v[28:29], v[182:183]
	v_mul_f64 v[182:183], v[188:189], s[22:23]
	v_add_f64 v[168:169], v[28:29], v[168:169]
	v_add_f64 v[170:171], v[30:31], v[170:171]
	;; [unrolled: 1-line block ×9, first 2 shown]
	v_mul_f64 v[190:191], v[112:113], s[20:21]
	v_fma_f64 v[196:197], v[192:193], s[10:11], v[106:107]
	v_fma_f64 v[198:199], v[94:95], s[36:37], v[194:195]
	v_add_f64 v[28:29], v[28:29], v[152:153]
	v_fma_f64 v[106:107], v[192:193], s[10:11], -v[106:107]
	v_fma_f64 v[152:153], v[192:193], s[20:21], v[182:183]
	v_add_f64 v[78:79], v[30:31], v[78:79]
	v_add_f64 v[160:161], v[30:31], v[160:161]
	v_add_f64 v[166:167], v[30:31], v[166:167]
	v_add_f64 v[178:179], v[30:31], v[178:179]
	v_add_f64 v[174:175], v[30:31], v[174:175]
	v_add_f64 v[186:187], v[30:31], v[186:187]
	v_add_f64 v[30:31], v[30:31], v[140:141]
	v_fma_f64 v[140:141], v[94:95], s[14:15], v[194:195]
	v_fma_f64 v[194:195], v[94:95], s[38:39], v[190:191]
	v_add_f64 v[168:169], v[196:197], v[168:169]
	v_add_f64 v[170:171], v[198:199], v[170:171]
	v_mul_f64 v[196:197], v[188:189], s[34:35]
	v_mul_f64 v[198:199], v[112:113], s[24:25]
	v_add_f64 v[76:77], v[106:107], v[76:77]
	v_add_f64 v[106:107], v[152:153], v[154:155]
	v_fma_f64 v[154:155], v[94:95], s[22:23], v[190:191]
	v_mul_f64 v[190:191], v[188:189], s[30:31]
	v_add_f64 v[78:79], v[140:141], v[78:79]
	v_add_f64 v[140:141], v[194:195], v[160:161]
	v_fma_f64 v[152:153], v[192:193], s[20:21], -v[182:183]
	v_fma_f64 v[160:161], v[192:193], s[24:25], v[196:197]
	v_fma_f64 v[182:183], v[94:95], s[26:27], v[198:199]
	v_mul_f64 v[194:195], v[112:113], s[16:17]
	v_add_f64 v[154:155], v[154:155], v[166:167]
	v_fma_f64 v[166:167], v[192:193], s[16:17], v[190:191]
	v_mul_f64 v[188:189], v[188:189], s[28:29]
	v_mul_f64 v[112:113], v[112:113], s[2:3]
	v_add_f64 v[152:153], v[152:153], v[164:165]
	v_add_f64 v[160:161], v[160:161], v[176:177]
	;; [unrolled: 1-line block ×3, first 2 shown]
	v_fma_f64 v[176:177], v[94:95], s[18:19], v[194:195]
	v_fma_f64 v[178:179], v[192:193], s[16:17], -v[190:191]
	v_fma_f64 v[182:183], v[94:95], s[30:31], v[194:195]
	v_add_f64 v[166:167], v[166:167], v[184:185]
	v_add_f64 v[184:185], v[104:105], -v[82:83]
	v_add_f64 v[82:83], v[104:105], v[82:83]
	v_fma_f64 v[198:199], v[94:95], s[34:35], v[198:199]
	v_fma_f64 v[196:197], v[192:193], s[24:25], -v[196:197]
	v_add_f64 v[176:177], v[176:177], v[186:187]
	v_add_f64 v[104:105], v[178:179], v[114:115]
	;; [unrolled: 1-line block ×3, first 2 shown]
	v_fma_f64 v[178:179], v[192:193], s[2:3], v[188:189]
	v_fma_f64 v[180:181], v[94:95], s[8:9], v[112:113]
	v_add_f64 v[182:183], v[102:103], v[80:81]
	v_add_f64 v[80:81], v[102:103], -v[80:81]
	v_mul_f64 v[102:103], v[184:185], s[18:19]
	v_mul_f64 v[186:187], v[82:83], s[16:17]
	v_fma_f64 v[188:189], v[192:193], s[2:3], -v[188:189]
	v_fma_f64 v[94:95], v[94:95], s[28:29], v[112:113]
	v_add_f64 v[112:113], v[178:179], v[142:143]
	v_add_f64 v[142:143], v[180:181], v[162:163]
	v_mul_f64 v[162:163], v[184:185], s[34:35]
	v_mul_f64 v[178:179], v[82:83], s[24:25]
	v_fma_f64 v[180:181], v[182:183], s[16:17], v[102:103]
	v_fma_f64 v[190:191], v[80:81], s[30:31], v[186:187]
	v_add_f64 v[28:29], v[188:189], v[28:29]
	v_add_f64 v[30:31], v[94:95], v[30:31]
	v_fma_f64 v[94:95], v[182:183], s[16:17], -v[102:103]
	v_fma_f64 v[102:103], v[80:81], s[18:19], v[186:187]
	v_fma_f64 v[186:187], v[182:183], s[24:25], v[162:163]
	v_fma_f64 v[188:189], v[80:81], s[26:27], v[178:179]
	v_add_f64 v[168:169], v[180:181], v[168:169]
	v_add_f64 v[170:171], v[190:191], v[170:171]
	v_mul_f64 v[180:181], v[184:185], s[36:37]
	v_mul_f64 v[190:191], v[82:83], s[10:11]
	v_add_f64 v[172:173], v[196:197], v[172:173]
	v_add_f64 v[174:175], v[198:199], v[174:175]
	;; [unrolled: 1-line block ×6, first 2 shown]
	v_fma_f64 v[106:107], v[182:183], s[24:25], -v[162:163]
	v_fma_f64 v[140:141], v[80:81], s[34:35], v[178:179]
	v_fma_f64 v[162:163], v[182:183], s[10:11], v[180:181]
	;; [unrolled: 1-line block ×3, first 2 shown]
	v_mul_f64 v[186:187], v[184:185], s[8:9]
	v_mul_f64 v[188:189], v[82:83], s[2:3]
	v_fma_f64 v[180:181], v[182:183], s[10:11], -v[180:181]
	v_fma_f64 v[190:191], v[80:81], s[36:37], v[190:191]
	v_add_f64 v[106:107], v[106:107], v[152:153]
	v_add_f64 v[140:141], v[140:141], v[154:155]
	;; [unrolled: 1-line block ×4, first 2 shown]
	v_fma_f64 v[160:161], v[182:183], s[2:3], v[186:187]
	v_fma_f64 v[162:163], v[80:81], s[28:29], v[188:189]
	v_add_f64 v[164:165], v[180:181], v[172:173]
	v_add_f64 v[172:173], v[190:191], v[174:175]
	v_mul_f64 v[174:175], v[184:185], s[22:23]
	v_mul_f64 v[82:83], v[82:83], s[20:21]
	v_fma_f64 v[178:179], v[182:183], s[2:3], -v[186:187]
	v_fma_f64 v[180:181], v[80:81], s[8:9], v[188:189]
	v_add_f64 v[160:161], v[160:161], v[166:167]
	v_add_f64 v[162:163], v[162:163], v[176:177]
	v_add_f64 v[166:167], v[98:99], -v[90:91]
	v_add_f64 v[90:91], v[98:99], v[90:91]
	v_fma_f64 v[98:99], v[182:183], s[20:21], v[174:175]
	v_fma_f64 v[176:177], v[80:81], s[38:39], v[82:83]
	v_add_f64 v[104:105], v[178:179], v[104:105]
	v_add_f64 v[178:179], v[100:101], v[88:89]
	v_add_f64 v[88:89], v[100:101], -v[88:89]
	v_fma_f64 v[80:81], v[80:81], s[22:23], v[82:83]
	v_mul_f64 v[82:83], v[166:167], s[30:31]
	v_mul_f64 v[100:101], v[166:167], s[22:23]
	v_add_f64 v[98:99], v[98:99], v[112:113]
	v_add_f64 v[112:113], v[176:177], v[142:143]
	v_fma_f64 v[142:143], v[182:183], s[20:21], -v[174:175]
	v_mul_f64 v[174:175], v[90:91], s[16:17]
	v_add_f64 v[114:115], v[180:181], v[114:115]
	v_add_f64 v[30:31], v[80:81], v[30:31]
	v_fma_f64 v[80:81], v[178:179], s[16:17], v[82:83]
	v_mul_f64 v[180:181], v[90:91], s[20:21]
	v_fma_f64 v[176:177], v[178:179], s[20:21], v[100:101]
	v_fma_f64 v[100:101], v[178:179], s[20:21], -v[100:101]
	v_add_f64 v[28:29], v[142:143], v[28:29]
	v_fma_f64 v[142:143], v[88:89], s[18:19], v[174:175]
	v_fma_f64 v[82:83], v[178:179], s[16:17], -v[82:83]
	v_add_f64 v[188:189], v[146:147], -v[150:151]
	v_add_f64 v[80:81], v[80:81], v[94:95]
	v_fma_f64 v[182:183], v[88:89], s[38:39], v[180:181]
	v_fma_f64 v[180:181], v[88:89], s[22:23], v[180:181]
	v_add_f64 v[168:169], v[176:177], v[168:169]
	v_add_f64 v[76:77], v[100:101], v[76:77]
	;; [unrolled: 1-line block ×3, first 2 shown]
	v_fma_f64 v[102:103], v[88:89], s[30:31], v[174:175]
	v_mul_f64 v[174:175], v[90:91], s[24:25]
	v_mul_f64 v[100:101], v[166:167], s[8:9]
	;; [unrolled: 1-line block ×4, first 2 shown]
	v_add_f64 v[170:171], v[182:183], v[170:171]
	v_add_f64 v[78:79], v[180:181], v[78:79]
	;; [unrolled: 1-line block ×4, first 2 shown]
	v_fma_f64 v[140:141], v[88:89], s[34:35], v[174:175]
	v_fma_f64 v[180:181], v[178:179], s[2:3], v[100:101]
	;; [unrolled: 1-line block ×3, first 2 shown]
	v_fma_f64 v[100:101], v[178:179], s[2:3], -v[100:101]
	v_fma_f64 v[176:177], v[88:89], s[8:9], v[176:177]
	v_fma_f64 v[106:107], v[178:179], s[24:25], v[142:143]
	v_mul_f64 v[166:167], v[166:167], s[36:37]
	v_mul_f64 v[90:91], v[90:91], s[10:11]
	v_add_f64 v[140:141], v[140:141], v[162:163]
	v_add_f64 v[162:163], v[96:97], -v[92:93]
	v_add_f64 v[96:97], v[96:97], v[92:93]
	v_add_f64 v[100:101], v[100:101], v[164:165]
	;; [unrolled: 1-line block ×4, first 2 shown]
	v_fma_f64 v[142:143], v[178:179], s[24:25], -v[142:143]
	v_fma_f64 v[160:161], v[88:89], s[26:27], v[174:175]
	v_fma_f64 v[92:93], v[178:179], s[10:11], v[166:167]
	;; [unrolled: 1-line block ×3, first 2 shown]
	v_fma_f64 v[166:167], v[178:179], s[10:11], -v[166:167]
	v_fma_f64 v[88:89], v[88:89], s[36:37], v[90:91]
	v_add_f64 v[174:175], v[84:85], v[86:87]
	v_add_f64 v[176:177], v[84:85], -v[86:87]
	v_mul_f64 v[84:85], v[162:163], s[26:27]
	v_mul_f64 v[86:87], v[96:97], s[24:25]
	v_add_f64 v[104:105], v[142:143], v[104:105]
	v_add_f64 v[114:115], v[160:161], v[114:115]
	;; [unrolled: 1-line block ×6, first 2 shown]
	v_fma_f64 v[28:29], v[174:175], s[24:25], v[84:85]
	v_fma_f64 v[30:31], v[176:177], s[34:35], v[86:87]
	v_fma_f64 v[88:89], v[174:175], s[24:25], -v[84:85]
	v_fma_f64 v[90:91], v[176:177], s[26:27], v[86:87]
	v_add_f64 v[98:99], v[22:23], v[110:111]
	v_add_f64 v[112:113], v[172:173], v[112:113]
	v_mul_f64 v[172:173], v[162:163], s[28:29]
	v_mul_f64 v[178:179], v[96:97], s[2:3]
	v_add_f64 v[84:85], v[28:29], v[168:169]
	v_add_f64 v[86:87], v[30:31], v[170:171]
	;; [unrolled: 1-line block ×6, first 2 shown]
	v_fma_f64 v[88:89], v[174:175], s[2:3], v[172:173]
	v_fma_f64 v[90:91], v[176:177], s[8:9], v[178:179]
	v_mul_f64 v[92:93], v[162:163], s[22:23]
	v_mul_f64 v[98:99], v[96:97], s[20:21]
	v_fma_f64 v[168:169], v[174:175], s[2:3], -v[172:173]
	v_fma_f64 v[170:171], v[176:177], s[28:29], v[178:179]
	v_add_f64 v[172:173], v[76:77], v[132:133]
	v_add_f64 v[178:179], v[78:79], v[134:135]
	;; [unrolled: 1-line block ×6, first 2 shown]
	v_fma_f64 v[80:81], v[174:175], s[20:21], v[92:93]
	v_fma_f64 v[94:95], v[176:177], s[38:39], v[98:99]
	v_add_f64 v[76:77], v[168:169], v[82:83]
	v_add_f64 v[78:79], v[170:171], v[102:103]
	;; [unrolled: 1-line block ×4, first 2 shown]
	v_fma_f64 v[168:169], v[174:175], s[20:21], -v[92:93]
	v_fma_f64 v[98:99], v[176:177], s[22:23], v[98:99]
	v_add_f64 v[92:93], v[80:81], v[152:153]
	v_add_f64 v[94:95], v[94:95], v[154:155]
	v_mul_f64 v[152:153], v[162:163], s[36:37]
	v_mul_f64 v[154:155], v[96:97], s[10:11]
	v_add_f64 v[170:171], v[82:83], v[116:117]
	v_add_f64 v[102:103], v[102:103], v[120:121]
	v_mul_f64 v[162:163], v[162:163], s[18:19]
	v_add_f64 v[80:81], v[168:169], v[100:101]
	v_add_f64 v[82:83], v[98:99], v[164:165]
	v_mul_f64 v[164:165], v[96:97], s[16:17]
	v_fma_f64 v[96:97], v[174:175], s[10:11], v[152:153]
	v_fma_f64 v[98:99], v[176:177], s[14:15], v[154:155]
	v_add_f64 v[168:169], v[170:171], v[118:119]
	v_add_f64 v[170:171], v[102:103], v[122:123]
	v_fma_f64 v[152:153], v[174:175], s[10:11], -v[152:153]
	v_fma_f64 v[172:173], v[174:175], s[16:17], v[162:163]
	v_fma_f64 v[154:155], v[176:177], s[36:37], v[154:155]
	;; [unrolled: 1-line block ×3, first 2 shown]
	v_add_f64 v[100:101], v[96:97], v[106:107]
	v_add_f64 v[102:103], v[98:99], v[140:141]
	;; [unrolled: 1-line block ×6, first 2 shown]
	v_add_f64 v[142:143], v[110:111], -v[158:159]
	v_add_f64 v[152:153], v[110:111], v[158:159]
	v_add_f64 v[98:99], v[154:155], v[114:115]
	;; [unrolled: 1-line block ×5, first 2 shown]
	v_fma_f64 v[114:115], v[174:175], s[16:17], -v[162:163]
	v_fma_f64 v[140:141], v[176:177], s[18:19], v[164:165]
	v_add_f64 v[154:155], v[108:109], v[156:157]
	v_add_f64 v[162:163], v[108:109], -v[156:157]
	v_mul_f64 v[180:181], v[142:143], s[22:23]
	v_mul_f64 v[182:183], v[152:153], s[20:21]
	;; [unrolled: 1-line block ×4, first 2 shown]
	v_add_f64 v[108:109], v[110:111], v[148:149]
	v_add_f64 v[110:111], v[112:113], v[150:151]
	;; [unrolled: 1-line block ×4, first 2 shown]
	v_mul_f64 v[140:141], v[142:143], s[14:15]
	v_mul_f64 v[160:161], v[152:153], s[10:11]
	;; [unrolled: 1-line block ×4, first 2 shown]
	v_fma_f64 v[184:185], v[154:155], s[20:21], v[180:181]
	v_fma_f64 v[186:187], v[162:163], s[38:39], v[182:183]
	v_fma_f64 v[180:181], v[154:155], s[20:21], -v[180:181]
	v_fma_f64 v[182:183], v[162:163], s[22:23], v[182:183]
	v_mul_f64 v[142:143], v[142:143], s[26:27]
	v_mul_f64 v[152:153], v[152:153], s[24:25]
	v_fma_f64 v[166:167], v[154:155], s[2:3], v[164:165]
	v_add_f64 v[146:147], v[146:147], v[150:151]
	v_add_f64 v[192:193], v[144:145], v[148:149]
	v_add_f64 v[144:145], v[144:145], -v[148:149]
	v_add_f64 v[150:151], v[20:21], v[180:181]
	v_add_f64 v[180:181], v[22:23], v[182:183]
	v_fma_f64 v[182:183], v[154:155], s[24:25], v[142:143]
	v_fma_f64 v[190:191], v[162:163], s[34:35], v[152:153]
	v_mul_f64 v[148:149], v[188:189], s[14:15]
	v_fma_f64 v[170:171], v[162:163], s[28:29], v[168:169]
	v_add_f64 v[108:109], v[108:109], v[156:157]
	v_add_f64 v[110:111], v[110:111], v[158:159]
	v_fma_f64 v[156:157], v[154:155], s[2:3], -v[164:165]
	v_fma_f64 v[158:159], v[162:163], s[8:9], v[168:169]
	v_fma_f64 v[164:165], v[154:155], s[10:11], v[140:141]
	;; [unrolled: 1-line block ×3, first 2 shown]
	v_add_f64 v[166:167], v[20:21], v[166:167]
	v_fma_f64 v[140:141], v[154:155], s[10:11], -v[140:141]
	v_fma_f64 v[160:161], v[162:163], s[14:15], v[160:161]
	v_fma_f64 v[176:177], v[154:155], s[16:17], v[172:173]
	;; [unrolled: 1-line block ×3, first 2 shown]
	v_fma_f64 v[172:173], v[154:155], s[16:17], -v[172:173]
	v_fma_f64 v[174:175], v[162:163], s[18:19], v[174:175]
	v_mul_f64 v[194:195], v[146:147], s[10:11]
	v_fma_f64 v[142:143], v[154:155], s[24:25], -v[142:143]
	v_fma_f64 v[152:153], v[162:163], s[26:27], v[152:153]
	v_add_f64 v[154:155], v[20:21], v[182:183]
	v_add_f64 v[162:163], v[22:23], v[190:191]
	v_mul_f64 v[182:183], v[188:189], s[22:23]
	v_mul_f64 v[190:191], v[146:147], s[20:21]
	v_fma_f64 v[196:197], v[192:193], s[10:11], v[148:149]
	v_add_f64 v[170:171], v[22:23], v[170:171]
	v_add_f64 v[156:157], v[20:21], v[156:157]
	;; [unrolled: 1-line block ×13, first 2 shown]
	v_fma_f64 v[198:199], v[144:145], s[36:37], v[194:195]
	v_add_f64 v[20:21], v[20:21], v[142:143]
	v_add_f64 v[22:23], v[22:23], v[152:153]
	v_fma_f64 v[142:143], v[192:193], s[10:11], -v[148:149]
	v_fma_f64 v[148:149], v[144:145], s[14:15], v[194:195]
	v_fma_f64 v[152:153], v[192:193], s[20:21], v[182:183]
	;; [unrolled: 1-line block ×3, first 2 shown]
	v_add_f64 v[166:167], v[196:197], v[166:167]
	v_mul_f64 v[196:197], v[188:189], s[34:35]
	v_add_f64 v[170:171], v[198:199], v[170:171]
	v_mul_f64 v[198:199], v[146:147], s[24:25]
	v_add_f64 v[142:143], v[142:143], v[156:157]
	v_add_f64 v[148:149], v[148:149], v[158:159]
	;; [unrolled: 1-line block ×4, first 2 shown]
	v_fma_f64 v[158:159], v[192:193], s[20:21], -v[182:183]
	v_fma_f64 v[164:165], v[144:145], s[22:23], v[190:191]
	v_fma_f64 v[168:169], v[192:193], s[24:25], v[196:197]
	v_mul_f64 v[190:191], v[188:189], s[30:31]
	v_fma_f64 v[182:183], v[144:145], s[26:27], v[198:199]
	v_mul_f64 v[194:195], v[146:147], s[16:17]
	v_mul_f64 v[188:189], v[188:189], s[28:29]
	;; [unrolled: 1-line block ×3, first 2 shown]
	v_add_f64 v[140:141], v[158:159], v[140:141]
	v_add_f64 v[158:159], v[164:165], v[160:161]
	v_add_f64 v[160:161], v[168:169], v[176:177]
	v_fma_f64 v[168:169], v[192:193], s[16:17], v[190:191]
	v_add_f64 v[164:165], v[182:183], v[178:179]
	v_fma_f64 v[178:179], v[192:193], s[16:17], -v[190:191]
	v_fma_f64 v[182:183], v[144:145], s[30:31], v[194:195]
	v_fma_f64 v[176:177], v[144:145], s[18:19], v[194:195]
	;; [unrolled: 1-line block ×3, first 2 shown]
	v_fma_f64 v[196:197], v[192:193], s[24:25], -v[196:197]
	v_add_f64 v[168:169], v[168:169], v[184:185]
	v_add_f64 v[184:185], v[134:135], -v[138:139]
	v_add_f64 v[134:135], v[134:135], v[138:139]
	v_add_f64 v[138:139], v[178:179], v[150:151]
	v_add_f64 v[150:151], v[182:183], v[180:181]
	v_fma_f64 v[178:179], v[192:193], s[2:3], v[188:189]
	v_fma_f64 v[180:181], v[144:145], s[8:9], v[146:147]
	v_add_f64 v[182:183], v[132:133], v[136:137]
	v_add_f64 v[132:133], v[132:133], -v[136:137]
	v_mul_f64 v[136:137], v[184:185], s[18:19]
	v_add_f64 v[176:177], v[176:177], v[186:187]
	v_mul_f64 v[186:187], v[134:135], s[16:17]
	v_fma_f64 v[188:189], v[192:193], s[2:3], -v[188:189]
	v_fma_f64 v[144:145], v[144:145], s[28:29], v[146:147]
	v_add_f64 v[146:147], v[178:179], v[154:155]
	v_add_f64 v[154:155], v[180:181], v[162:163]
	v_mul_f64 v[162:163], v[184:185], s[34:35]
	v_mul_f64 v[178:179], v[134:135], s[24:25]
	v_fma_f64 v[180:181], v[182:183], s[16:17], v[136:137]
	v_fma_f64 v[190:191], v[132:133], s[30:31], v[186:187]
	v_add_f64 v[20:21], v[188:189], v[20:21]
	v_add_f64 v[22:23], v[144:145], v[22:23]
	v_fma_f64 v[136:137], v[182:183], s[16:17], -v[136:137]
	v_fma_f64 v[144:145], v[132:133], s[18:19], v[186:187]
	v_fma_f64 v[186:187], v[182:183], s[24:25], v[162:163]
	;; [unrolled: 1-line block ×3, first 2 shown]
	v_add_f64 v[166:167], v[180:181], v[166:167]
	v_mul_f64 v[180:181], v[184:185], s[36:37]
	v_add_f64 v[170:171], v[190:191], v[170:171]
	v_mul_f64 v[190:191], v[134:135], s[10:11]
	v_add_f64 v[136:137], v[136:137], v[142:143]
	v_add_f64 v[142:143], v[144:145], v[148:149]
	v_add_f64 v[144:145], v[186:187], v[152:153]
	v_add_f64 v[148:149], v[188:189], v[156:157]
	v_fma_f64 v[152:153], v[182:183], s[24:25], -v[162:163]
	v_fma_f64 v[156:157], v[132:133], s[34:35], v[178:179]
	v_fma_f64 v[162:163], v[182:183], s[10:11], v[180:181]
	v_mul_f64 v[186:187], v[184:185], s[8:9]
	v_add_f64 v[172:173], v[196:197], v[172:173]
	v_add_f64 v[174:175], v[198:199], v[174:175]
	v_fma_f64 v[178:179], v[132:133], s[14:15], v[190:191]
	v_mul_f64 v[188:189], v[134:135], s[2:3]
	v_fma_f64 v[180:181], v[182:183], s[10:11], -v[180:181]
	v_fma_f64 v[190:191], v[132:133], s[36:37], v[190:191]
	v_add_f64 v[140:141], v[152:153], v[140:141]
	v_add_f64 v[152:153], v[156:157], v[158:159]
	;; [unrolled: 1-line block ×3, first 2 shown]
	v_fma_f64 v[160:161], v[182:183], s[2:3], v[186:187]
	v_add_f64 v[158:159], v[178:179], v[164:165]
	v_fma_f64 v[162:163], v[132:133], s[28:29], v[188:189]
	v_add_f64 v[164:165], v[180:181], v[172:173]
	v_add_f64 v[172:173], v[190:191], v[174:175]
	v_mul_f64 v[174:175], v[184:185], s[22:23]
	v_mul_f64 v[134:135], v[134:135], s[20:21]
	v_fma_f64 v[178:179], v[182:183], s[2:3], -v[186:187]
	v_fma_f64 v[180:181], v[132:133], s[8:9], v[188:189]
	v_add_f64 v[160:161], v[160:161], v[168:169]
	v_add_f64 v[168:169], v[126:127], -v[130:131]
	v_add_f64 v[126:127], v[126:127], v[130:131]
	v_add_f64 v[162:163], v[162:163], v[176:177]
	v_fma_f64 v[130:131], v[182:183], s[20:21], v[174:175]
	v_fma_f64 v[176:177], v[132:133], s[38:39], v[134:135]
	v_add_f64 v[138:139], v[178:179], v[138:139]
	v_add_f64 v[150:151], v[180:181], v[150:151]
	;; [unrolled: 1-line block ×3, first 2 shown]
	v_add_f64 v[124:125], v[124:125], -v[128:129]
	v_mul_f64 v[128:129], v[168:169], s[22:23]
	v_mul_f64 v[180:181], v[126:127], s[20:21]
	v_add_f64 v[130:131], v[130:131], v[146:147]
	v_add_f64 v[146:147], v[176:177], v[154:155]
	v_fma_f64 v[154:155], v[182:183], s[20:21], -v[174:175]
	v_fma_f64 v[132:133], v[132:133], s[22:23], v[134:135]
	v_mul_f64 v[134:135], v[168:169], s[30:31]
	v_mul_f64 v[174:175], v[126:127], s[16:17]
	v_fma_f64 v[176:177], v[178:179], s[20:21], v[128:129]
	v_fma_f64 v[182:183], v[124:125], s[38:39], v[180:181]
	v_fma_f64 v[128:129], v[178:179], s[20:21], -v[128:129]
	v_fma_f64 v[180:181], v[124:125], s[22:23], v[180:181]
	v_add_f64 v[20:21], v[154:155], v[20:21]
	v_add_f64 v[22:23], v[132:133], v[22:23]
	v_fma_f64 v[132:133], v[178:179], s[16:17], v[134:135]
	v_fma_f64 v[154:155], v[124:125], s[18:19], v[174:175]
	v_add_f64 v[166:167], v[176:177], v[166:167]
	v_mul_f64 v[176:177], v[126:127], s[2:3]
	v_add_f64 v[128:129], v[128:129], v[136:137]
	v_add_f64 v[136:137], v[180:181], v[142:143]
	v_mul_f64 v[142:143], v[168:169], s[8:9]
	v_add_f64 v[170:171], v[182:183], v[170:171]
	v_fma_f64 v[134:135], v[178:179], s[16:17], -v[134:135]
	v_fma_f64 v[174:175], v[124:125], s[30:31], v[174:175]
	v_add_f64 v[132:133], v[132:133], v[144:145]
	v_fma_f64 v[182:183], v[124:125], s[28:29], v[176:177]
	v_fma_f64 v[176:177], v[124:125], s[8:9], v[176:177]
	v_add_f64 v[144:145], v[154:155], v[148:149]
	v_fma_f64 v[180:181], v[178:179], s[2:3], v[142:143]
	v_fma_f64 v[142:143], v[178:179], s[2:3], -v[142:143]
	v_mul_f64 v[148:149], v[168:169], s[26:27]
	v_mul_f64 v[154:155], v[126:127], s[24:25]
	v_add_f64 v[134:135], v[134:135], v[140:141]
	v_add_f64 v[140:141], v[174:175], v[152:153]
	;; [unrolled: 1-line block ×6, first 2 shown]
	v_add_f64 v[164:165], v[120:121], -v[122:123]
	v_add_f64 v[172:173], v[120:121], v[122:123]
	v_mul_f64 v[120:121], v[168:169], s[36:37]
	v_fma_f64 v[184:185], v[178:179], s[24:25], v[148:149]
	v_fma_f64 v[186:187], v[124:125], s[34:35], v[154:155]
	v_mul_f64 v[122:123], v[126:127], s[10:11]
	v_fma_f64 v[126:127], v[178:179], s[24:25], -v[148:149]
	v_fma_f64 v[148:149], v[124:125], s[26:27], v[154:155]
	v_add_f64 v[154:155], v[116:117], v[118:119]
	v_add_f64 v[168:169], v[116:117], -v[118:119]
	v_mul_f64 v[116:117], v[164:165], s[26:27]
	v_mul_f64 v[118:119], v[172:173], s[24:25]
	v_fma_f64 v[174:175], v[178:179], s[10:11], v[120:121]
	v_fma_f64 v[176:177], v[124:125], s[14:15], v[122:123]
	v_add_f64 v[180:181], v[126:127], v[138:139]
	v_add_f64 v[148:149], v[148:149], v[150:151]
	v_fma_f64 v[120:121], v[178:179], s[10:11], -v[120:121]
	v_fma_f64 v[122:123], v[124:125], s[36:37], v[122:123]
	v_fma_f64 v[124:125], v[154:155], s[24:25], v[116:117]
	;; [unrolled: 1-line block ×3, first 2 shown]
	v_add_f64 v[150:151], v[174:175], v[130:131]
	v_mul_f64 v[130:131], v[164:165], s[28:29]
	v_mul_f64 v[138:139], v[172:173], s[2:3]
	v_add_f64 v[146:147], v[176:177], v[146:147]
	v_add_f64 v[174:175], v[120:121], v[20:21]
	;; [unrolled: 1-line block ×5, first 2 shown]
	v_fma_f64 v[116:117], v[154:155], s[24:25], -v[116:117]
	v_fma_f64 v[118:119], v[168:169], s[26:27], v[118:119]
	v_fma_f64 v[120:121], v[154:155], s[2:3], v[130:131]
	;; [unrolled: 1-line block ×3, first 2 shown]
	v_mul_f64 v[166:167], v[164:165], s[22:23]
	v_mul_f64 v[170:171], v[172:173], s[20:21]
	v_fma_f64 v[124:125], v[154:155], s[2:3], -v[130:131]
	v_fma_f64 v[126:127], v[168:169], s[28:29], v[138:139]
	v_add_f64 v[116:117], v[116:117], v[128:129]
	v_add_f64 v[118:119], v[118:119], v[136:137]
	;; [unrolled: 1-line block ×4, first 2 shown]
	v_fma_f64 v[128:129], v[154:155], s[20:21], v[166:167]
	v_fma_f64 v[130:131], v[168:169], s[38:39], v[170:171]
	v_add_f64 v[124:125], v[124:125], v[134:135]
	v_add_f64 v[126:127], v[126:127], v[140:141]
	v_fma_f64 v[132:133], v[154:155], s[20:21], -v[166:167]
	v_fma_f64 v[134:135], v[168:169], s[22:23], v[170:171]
	v_mul_f64 v[136:137], v[164:165], s[36:37]
	v_mul_f64 v[138:139], v[172:173], s[10:11]
	;; [unrolled: 1-line block ×4, first 2 shown]
	v_add_f64 v[160:161], v[184:185], v[160:161]
	v_add_f64 v[162:163], v[186:187], v[162:163]
	;; [unrolled: 1-line block ×6, first 2 shown]
	v_fma_f64 v[142:143], v[154:155], s[10:11], v[136:137]
	v_fma_f64 v[152:153], v[168:169], s[14:15], v[138:139]
	v_fma_f64 v[156:157], v[154:155], s[10:11], -v[136:137]
	v_fma_f64 v[158:159], v[168:169], s[36:37], v[138:139]
	v_fma_f64 v[164:165], v[154:155], s[16:17], v[140:141]
	;; [unrolled: 1-line block ×3, first 2 shown]
	v_fma_f64 v[154:155], v[154:155], s[16:17], -v[140:141]
	v_fma_f64 v[168:169], v[168:169], s[18:19], v[144:145]
	v_add_f64 v[136:137], v[142:143], v[160:161]
	v_add_f64 v[138:139], v[152:153], v[162:163]
	;; [unrolled: 1-line block ×8, first 2 shown]
	ds_write_b128 v252, v[24:27]
	ds_write_b128 v252, v[44:47] offset:112
	ds_write_b128 v252, v[48:51] offset:224
	ds_write_b128 v252, v[52:55] offset:336
	ds_write_b128 v252, v[60:63] offset:448
	ds_write_b128 v252, v[64:67] offset:560
	ds_write_b128 v252, v[72:75] offset:672
	ds_write_b128 v252, v[56:59] offset:784
	ds_write_b128 v252, v[40:43] offset:896
	ds_write_b128 v252, v[36:39] offset:1008
	ds_write_b128 v252, v[32:35] offset:1120
	ds_write_b128 v253, v[68:71]
	ds_write_b128 v253, v[84:87] offset:112
	ds_write_b128 v253, v[88:91] offset:224
	ds_write_b128 v253, v[92:95] offset:336
	ds_write_b128 v253, v[100:103] offset:448
	ds_write_b128 v253, v[104:107] offset:560
	ds_write_b128 v253, v[112:115] offset:672
	ds_write_b128 v253, v[96:99] offset:784
	ds_write_b128 v253, v[80:83] offset:896
	ds_write_b128 v253, v[76:79] offset:1008
	ds_write_b128 v253, v[28:31] offset:1120
	;; [unrolled: 11-line block ×3, first 2 shown]
	s_and_saveexec_b64 s[38:39], s[0:1]
	s_cbranch_execz .LBB0_9
; %bb.8:
	buffer_load_dword v28, off, s[44:47], 0 offset:2060 ; 4-byte Folded Reload
	buffer_load_dword v29, off, s[44:47], 0 offset:2064 ; 4-byte Folded Reload
	buffer_load_dword v30, off, s[44:47], 0 offset:2068 ; 4-byte Folded Reload
	buffer_load_dword v31, off, s[44:47], 0 offset:2072 ; 4-byte Folded Reload
	buffer_load_dword v32, off, s[44:47], 0 offset:132 ; 4-byte Folded Reload
	buffer_load_dword v33, off, s[44:47], 0 offset:136 ; 4-byte Folded Reload
	buffer_load_dword v34, off, s[44:47], 0 offset:140 ; 4-byte Folded Reload
	buffer_load_dword v35, off, s[44:47], 0 offset:144 ; 4-byte Folded Reload
	buffer_load_dword v24, off, s[44:47], 0 offset:2044 ; 4-byte Folded Reload
	buffer_load_dword v25, off, s[44:47], 0 offset:2048 ; 4-byte Folded Reload
	buffer_load_dword v26, off, s[44:47], 0 offset:2052 ; 4-byte Folded Reload
	buffer_load_dword v27, off, s[44:47], 0 offset:2056 ; 4-byte Folded Reload
	buffer_load_dword v36, off, s[44:47], 0 offset:148 ; 4-byte Folded Reload
	buffer_load_dword v37, off, s[44:47], 0 offset:152 ; 4-byte Folded Reload
	buffer_load_dword v38, off, s[44:47], 0 offset:156 ; 4-byte Folded Reload
	buffer_load_dword v39, off, s[44:47], 0 offset:160 ; 4-byte Folded Reload
	s_waitcnt vmcnt(8)
	v_mul_f64 v[20:21], v[30:31], v[34:35]
	v_mul_f64 v[22:23], v[30:31], v[32:33]
	v_fma_f64 v[46:47], v[28:29], v[32:33], v[20:21]
	s_waitcnt vmcnt(0)
	v_mul_f64 v[20:21], v[26:27], v[38:39]
	v_fma_f64 v[60:61], v[28:29], v[34:35], -v[22:23]
	v_mul_f64 v[22:23], v[26:27], v[36:37]
	v_fma_f64 v[44:45], v[24:25], v[36:37], v[20:21]
	v_fma_f64 v[62:63], v[24:25], v[38:39], -v[22:23]
	buffer_load_dword v28, off, s[44:47], 0 offset:1980 ; 4-byte Folded Reload
	buffer_load_dword v29, off, s[44:47], 0 offset:1984 ; 4-byte Folded Reload
	;; [unrolled: 1-line block ×16, first 2 shown]
	v_add_f64 v[90:91], v[46:47], -v[44:45]
	v_add_f64 v[80:81], v[60:61], v[62:63]
	v_add_f64 v[114:115], v[60:61], -v[62:63]
	v_mul_f64 v[20:21], v[90:91], s[18:19]
	v_fma_f64 v[22:23], v[80:81], s[16:17], v[20:21]
	v_fma_f64 v[20:21], v[80:81], s[16:17], -v[20:21]
	s_waitcnt vmcnt(8)
	v_mul_f64 v[24:25], v[30:31], v[38:39]
	v_mul_f64 v[26:27], v[30:31], v[36:37]
	v_fma_f64 v[54:55], v[28:29], v[36:37], v[24:25]
	s_waitcnt vmcnt(0)
	v_mul_f64 v[24:25], v[34:35], v[42:43]
	v_fma_f64 v[66:67], v[28:29], v[38:39], -v[26:27]
	v_mul_f64 v[26:27], v[34:35], v[40:41]
	v_fma_f64 v[48:49], v[32:33], v[40:41], v[24:25]
	v_fma_f64 v[64:65], v[32:33], v[42:43], -v[26:27]
	buffer_load_dword v32, off, s[44:47], 0 offset:1948 ; 4-byte Folded Reload
	buffer_load_dword v33, off, s[44:47], 0 offset:1952 ; 4-byte Folded Reload
	;; [unrolled: 1-line block ×16, first 2 shown]
	v_add_f64 v[92:93], v[54:55], -v[48:49]
	v_add_f64 v[82:83], v[66:67], v[64:65]
	v_add_f64 v[116:117], v[66:67], -v[64:65]
	v_mul_f64 v[24:25], v[92:93], s[36:37]
	v_fma_f64 v[26:27], v[82:83], s[10:11], v[24:25]
	s_waitcnt vmcnt(8)
	v_mul_f64 v[28:29], v[34:35], v[42:43]
	v_mul_f64 v[30:31], v[34:35], v[40:41]
	v_fma_f64 v[58:59], v[32:33], v[40:41], v[28:29]
	s_waitcnt vmcnt(0)
	v_mul_f64 v[28:29], v[38:39], v[70:71]
	v_fma_f64 v[72:73], v[32:33], v[42:43], -v[30:31]
	v_mul_f64 v[30:31], v[38:39], v[68:69]
	v_fma_f64 v[50:51], v[36:37], v[68:69], v[28:29]
	v_fma_f64 v[70:71], v[36:37], v[70:71], -v[30:31]
	buffer_load_dword v36, off, s[44:47], 0 offset:1932 ; 4-byte Folded Reload
	buffer_load_dword v37, off, s[44:47], 0 offset:1936 ; 4-byte Folded Reload
	;; [unrolled: 1-line block ×16, first 2 shown]
	v_add_f64 v[96:97], v[58:59], -v[50:51]
	v_add_f64 v[88:89], v[72:73], v[70:71]
	v_add_f64 v[118:119], v[72:73], -v[70:71]
	v_mul_f64 v[28:29], v[96:97], s[22:23]
	v_fma_f64 v[30:31], v[88:89], s[20:21], v[28:29]
	s_waitcnt vmcnt(8)
	v_mul_f64 v[32:33], v[38:39], v[76:77]
	v_mul_f64 v[34:35], v[38:39], v[74:75]
	v_fma_f64 v[68:69], v[36:37], v[74:75], v[32:33]
	s_waitcnt vmcnt(0)
	v_mul_f64 v[32:33], v[42:43], v[86:87]
	v_fma_f64 v[76:77], v[36:37], v[76:77], -v[34:35]
	v_mul_f64 v[34:35], v[42:43], v[84:85]
	v_fma_f64 v[52:53], v[40:41], v[84:85], v[32:33]
	v_fma_f64 v[74:75], v[40:41], v[86:87], -v[34:35]
	buffer_load_dword v38, off, s[44:47], 0 offset:1916 ; 4-byte Folded Reload
	buffer_load_dword v39, off, s[44:47], 0 offset:1920 ; 4-byte Folded Reload
	;; [unrolled: 1-line block ×12, first 2 shown]
	v_add_f64 v[98:99], v[68:69], -v[52:53]
	v_add_f64 v[110:111], v[68:69], v[52:53]
	v_add_f64 v[94:95], v[76:77], v[74:75]
	v_add_f64 v[120:121], v[76:77], -v[74:75]
	v_mul_f64 v[32:33], v[98:99], s[28:29]
	v_mul_f64 v[128:129], v[120:121], s[30:31]
	;; [unrolled: 1-line block ×4, first 2 shown]
	v_fma_f64 v[34:35], v[94:95], s[2:3], v[32:33]
	v_fma_f64 v[130:131], v[110:111], s[16:17], -v[128:129]
	v_fma_f64 v[138:139], v[110:111], s[24:25], -v[136:137]
	;; [unrolled: 1-line block ×3, first 2 shown]
	s_waitcnt vmcnt(8)
	v_mul_f64 v[36:37], v[40:41], v[18:19]
	v_fma_f64 v[78:79], v[38:39], v[16:17], v[36:37]
	s_waitcnt vmcnt(0)
	v_mul_f64 v[36:37], v[104:105], v[108:109]
	v_mul_f64 v[16:17], v[40:41], v[16:17]
	;; [unrolled: 1-line block ×4, first 2 shown]
	v_fma_f64 v[56:57], v[102:103], v[106:107], v[36:37]
	v_fma_f64 v[84:85], v[38:39], v[18:19], -v[16:17]
	v_mul_f64 v[16:17], v[104:105], v[106:107]
	v_fma_f64 v[42:43], v[110:111], s[2:3], -v[40:41]
	v_add_f64 v[106:107], v[54:55], v[48:49]
	v_add_f64 v[104:105], v[46:47], v[44:45]
	v_add_f64 v[100:101], v[78:79], -v[56:57]
	v_add_f64 v[112:113], v[78:79], v[56:57]
	v_fma_f64 v[86:87], v[102:103], v[108:109], -v[16:17]
	v_add_f64 v[108:109], v[58:59], v[50:51]
	v_mul_f64 v[36:37], v[100:101], s[26:27]
	v_add_f64 v[102:103], v[84:85], v[86:87]
	v_add_f64 v[122:123], v[84:85], -v[86:87]
	v_fma_f64 v[16:17], v[102:103], s[24:25], v[36:37]
	v_mul_f64 v[124:125], v[122:123], s[26:27]
	v_mul_f64 v[132:133], v[122:123], s[22:23]
	v_mul_f64 v[140:141], v[122:123], s[18:19]
	v_mul_f64 v[148:149], v[122:123], s[14:15]
	v_mul_f64 v[122:123], v[122:123], s[8:9]
	v_add_f64 v[16:17], v[14:15], v[16:17]
	v_fma_f64 v[126:127], v[112:113], s[24:25], -v[124:125]
	v_fma_f64 v[134:135], v[112:113], s[20:21], -v[132:133]
	;; [unrolled: 1-line block ×4, first 2 shown]
	v_add_f64 v[16:17], v[34:35], v[16:17]
	v_mul_f64 v[34:35], v[118:119], s[22:23]
	v_add_f64 v[126:127], v[12:13], v[126:127]
	v_add_f64 v[134:135], v[12:13], v[134:135]
	;; [unrolled: 1-line block ×5, first 2 shown]
	v_mul_f64 v[30:31], v[116:117], s[36:37]
	v_fma_f64 v[38:39], v[108:109], s[20:21], -v[34:35]
	v_add_f64 v[42:43], v[42:43], v[126:127]
	v_add_f64 v[130:131], v[130:131], v[134:135]
	;; [unrolled: 1-line block ×5, first 2 shown]
	v_mul_f64 v[26:27], v[114:115], s[18:19]
	v_add_f64 v[38:39], v[38:39], v[42:43]
	v_add_f64 v[18:19], v[22:23], v[16:17]
	v_fma_f64 v[22:23], v[106:107], s[10:11], -v[30:31]
	v_fma_f64 v[16:17], v[104:105], s[16:17], -v[26:27]
	v_add_f64 v[22:23], v[22:23], v[38:39]
	v_add_f64 v[16:17], v[16:17], v[22:23]
	v_fma_f64 v[22:23], v[82:83], s[10:11], -v[24:25]
	v_fma_f64 v[24:25], v[88:89], s[20:21], -v[28:29]
	;; [unrolled: 1-line block ×4, first 2 shown]
	v_mul_f64 v[36:37], v[98:99], s[30:31]
	v_add_f64 v[32:33], v[14:15], v[32:33]
	v_fma_f64 v[38:39], v[94:95], s[16:17], v[36:37]
	v_fma_f64 v[36:37], v[94:95], s[16:17], -v[36:37]
	v_add_f64 v[28:29], v[28:29], v[32:33]
	v_mul_f64 v[32:33], v[96:97], s[8:9]
	v_add_f64 v[24:25], v[24:25], v[28:29]
	v_fma_f64 v[28:29], v[110:111], s[2:3], v[40:41]
	v_mul_f64 v[40:41], v[100:101], s[22:23]
	v_add_f64 v[22:23], v[22:23], v[24:25]
	v_fma_f64 v[24:25], v[106:107], s[10:11], v[30:31]
	v_fma_f64 v[30:31], v[112:113], s[24:25], v[124:125]
	;; [unrolled: 1-line block ×3, first 2 shown]
	v_fma_f64 v[40:41], v[102:103], s[20:21], -v[40:41]
	v_mul_f64 v[124:125], v[118:119], s[8:9]
	v_add_f64 v[22:23], v[20:21], v[22:23]
	v_fma_f64 v[20:21], v[104:105], s[16:17], v[26:27]
	v_add_f64 v[30:31], v[12:13], v[30:31]
	v_fma_f64 v[26:27], v[108:109], s[20:21], v[34:35]
	v_add_f64 v[42:43], v[14:15], v[42:43]
	v_add_f64 v[40:41], v[14:15], v[40:41]
	v_fma_f64 v[34:35], v[88:89], s[2:3], v[32:33]
	v_fma_f64 v[32:33], v[88:89], s[2:3], -v[32:33]
	v_fma_f64 v[126:127], v[108:109], s[2:3], -v[124:125]
	v_add_f64 v[28:29], v[28:29], v[30:31]
	v_mul_f64 v[30:31], v[92:93], s[26:27]
	v_add_f64 v[38:39], v[38:39], v[42:43]
	v_add_f64 v[36:37], v[36:37], v[40:41]
	v_mul_f64 v[40:41], v[96:97], s[36:37]
	v_add_f64 v[126:127], v[126:127], v[130:131]
	;; [unrolled: 3-line block ×3, first 2 shown]
	v_mul_f64 v[38:39], v[116:117], s[26:27]
	v_add_f64 v[32:33], v[32:33], v[36:37]
	v_fma_f64 v[36:37], v[110:111], s[16:17], v[128:129]
	v_mul_f64 v[128:129], v[100:101], s[18:19]
	v_add_f64 v[24:25], v[24:25], v[26:27]
	v_fma_f64 v[26:27], v[82:83], s[24:25], v[30:31]
	v_fma_f64 v[30:31], v[82:83], s[24:25], -v[30:31]
	v_fma_f64 v[42:43], v[106:107], s[24:25], -v[38:39]
	v_fma_f64 v[130:131], v[102:103], s[16:17], v[128:129]
	v_fma_f64 v[128:129], v[102:103], s[16:17], -v[128:129]
	v_add_f64 v[20:21], v[20:21], v[24:25]
	v_fma_f64 v[24:25], v[80:81], s[10:11], v[28:29]
	v_add_f64 v[26:27], v[26:27], v[34:35]
	v_mul_f64 v[34:35], v[114:115], s[36:37]
	v_fma_f64 v[28:29], v[80:81], s[10:11], -v[28:29]
	v_add_f64 v[30:31], v[30:31], v[32:33]
	v_fma_f64 v[32:33], v[106:107], s[24:25], v[38:39]
	v_fma_f64 v[38:39], v[112:113], s[20:21], v[132:133]
	v_add_f64 v[42:43], v[42:43], v[126:127]
	v_add_f64 v[130:131], v[14:15], v[130:131]
	;; [unrolled: 1-line block ×3, first 2 shown]
	v_fma_f64 v[24:25], v[104:105], s[10:11], -v[34:35]
	v_add_f64 v[128:129], v[14:15], v[128:129]
	v_add_f64 v[30:31], v[28:29], v[30:31]
	v_fma_f64 v[28:29], v[104:105], s[10:11], v[34:35]
	v_fma_f64 v[34:35], v[108:109], s[2:3], v[124:125]
	v_add_f64 v[38:39], v[12:13], v[38:39]
	v_mul_f64 v[124:125], v[98:99], s[34:35]
	v_mul_f64 v[132:133], v[118:119], s[36:37]
	v_add_f64 v[24:25], v[24:25], v[42:43]
	v_fma_f64 v[42:43], v[88:89], s[10:11], v[40:41]
	v_fma_f64 v[40:41], v[88:89], s[10:11], -v[40:41]
	v_add_f64 v[36:37], v[36:37], v[38:39]
	v_fma_f64 v[126:127], v[94:95], s[24:25], v[124:125]
	v_fma_f64 v[124:125], v[94:95], s[24:25], -v[124:125]
	v_mul_f64 v[38:39], v[92:93], s[8:9]
	v_fma_f64 v[134:135], v[108:109], s[10:11], -v[132:133]
	v_add_f64 v[34:35], v[34:35], v[36:37]
	v_add_f64 v[126:127], v[126:127], v[130:131]
	;; [unrolled: 1-line block ×3, first 2 shown]
	v_mul_f64 v[36:37], v[90:91], s[22:23]
	v_add_f64 v[134:135], v[134:135], v[138:139]
	v_mul_f64 v[128:129], v[96:97], s[34:35]
	v_mul_f64 v[96:97], v[96:97], s[18:19]
	v_add_f64 v[32:33], v[32:33], v[34:35]
	v_fma_f64 v[34:35], v[82:83], s[2:3], v[38:39]
	v_add_f64 v[42:43], v[42:43], v[126:127]
	v_mul_f64 v[126:127], v[116:117], s[8:9]
	v_fma_f64 v[38:39], v[82:83], s[2:3], -v[38:39]
	v_add_f64 v[40:41], v[40:41], v[124:125]
	v_fma_f64 v[124:125], v[110:111], s[24:25], v[136:137]
	v_mul_f64 v[136:137], v[100:101], s[14:15]
	v_add_f64 v[28:29], v[28:29], v[32:33]
	v_fma_f64 v[32:33], v[80:81], s[20:21], v[36:37]
	v_add_f64 v[34:35], v[34:35], v[42:43]
	v_mul_f64 v[42:43], v[114:115], s[22:23]
	v_fma_f64 v[130:131], v[106:107], s[2:3], -v[126:127]
	v_fma_f64 v[36:37], v[80:81], s[20:21], -v[36:37]
	v_add_f64 v[38:39], v[38:39], v[40:41]
	v_fma_f64 v[40:41], v[106:107], s[2:3], v[126:127]
	v_fma_f64 v[126:127], v[112:113], s[16:17], v[140:141]
	;; [unrolled: 1-line block ×3, first 2 shown]
	v_add_f64 v[34:35], v[32:33], v[34:35]
	v_fma_f64 v[32:33], v[104:105], s[20:21], -v[42:43]
	v_fma_f64 v[136:137], v[102:103], s[10:11], -v[136:137]
	v_add_f64 v[130:131], v[130:131], v[134:135]
	v_add_f64 v[38:39], v[36:37], v[38:39]
	v_fma_f64 v[36:37], v[104:105], s[20:21], v[42:43]
	v_fma_f64 v[42:43], v[108:109], s[10:11], v[132:133]
	v_add_f64 v[126:127], v[12:13], v[126:127]
	v_mul_f64 v[132:133], v[98:99], s[22:23]
	v_add_f64 v[138:139], v[14:15], v[138:139]
	v_add_f64 v[136:137], v[14:15], v[136:137]
	;; [unrolled: 1-line block ×3, first 2 shown]
	v_fma_f64 v[130:131], v[88:89], s[24:25], v[128:129]
	v_mul_f64 v[140:141], v[118:119], s[34:35]
	v_fma_f64 v[128:129], v[88:89], s[24:25], -v[128:129]
	v_add_f64 v[124:125], v[124:125], v[126:127]
	v_fma_f64 v[134:135], v[94:95], s[20:21], v[132:133]
	v_fma_f64 v[132:133], v[94:95], s[20:21], -v[132:133]
	v_mul_f64 v[126:127], v[92:93], s[30:31]
	v_mul_f64 v[98:99], v[98:99], s[14:15]
	;; [unrolled: 1-line block ×3, first 2 shown]
	v_fma_f64 v[142:143], v[108:109], s[24:25], -v[140:141]
	v_mul_f64 v[118:119], v[118:119], s[18:19]
	v_add_f64 v[42:43], v[42:43], v[124:125]
	v_add_f64 v[134:135], v[134:135], v[138:139]
	;; [unrolled: 1-line block ×3, first 2 shown]
	v_mul_f64 v[124:125], v[90:91], s[28:29]
	v_fma_f64 v[136:137], v[102:103], s[2:3], v[100:101]
	v_add_f64 v[142:143], v[142:143], v[146:147]
	v_add_f64 v[40:41], v[40:41], v[42:43]
	v_fma_f64 v[42:43], v[82:83], s[16:17], v[126:127]
	v_add_f64 v[130:131], v[130:131], v[134:135]
	v_mul_f64 v[134:135], v[116:117], s[30:31]
	v_fma_f64 v[126:127], v[82:83], s[16:17], -v[126:127]
	v_add_f64 v[128:129], v[128:129], v[132:133]
	v_fma_f64 v[132:133], v[110:111], s[20:21], v[144:145]
	v_add_f64 v[136:137], v[14:15], v[136:137]
	v_add_f64 v[36:37], v[36:37], v[40:41]
	v_fma_f64 v[40:41], v[80:81], s[2:3], v[124:125]
	v_add_f64 v[42:43], v[42:43], v[130:131]
	v_mul_f64 v[130:131], v[114:115], s[28:29]
	v_fma_f64 v[138:139], v[106:107], s[16:17], -v[134:135]
	v_add_f64 v[126:127], v[126:127], v[128:129]
	v_fma_f64 v[128:129], v[106:107], s[16:17], v[134:135]
	v_fma_f64 v[134:135], v[112:113], s[10:11], v[148:149]
	v_fma_f64 v[124:125], v[80:81], s[2:3], -v[124:125]
	v_mul_f64 v[116:117], v[116:117], s[22:23]
	v_add_f64 v[42:43], v[40:41], v[42:43]
	v_fma_f64 v[40:41], v[104:105], s[2:3], -v[130:131]
	v_add_f64 v[138:139], v[138:139], v[142:143]
	v_mul_f64 v[114:115], v[114:115], s[26:27]
	v_add_f64 v[134:135], v[12:13], v[134:135]
	v_add_f64 v[126:127], v[124:125], v[126:127]
	v_fma_f64 v[124:125], v[104:105], s[2:3], v[130:131]
	v_fma_f64 v[130:131], v[108:109], s[24:25], v[140:141]
	v_add_f64 v[40:41], v[40:41], v[138:139]
	v_fma_f64 v[138:139], v[112:113], s[2:3], -v[122:123]
	v_add_f64 v[132:133], v[132:133], v[134:135]
	v_fma_f64 v[134:135], v[94:95], s[10:11], v[98:99]
	v_fma_f64 v[94:95], v[94:95], s[10:11], -v[98:99]
	v_fma_f64 v[98:99], v[112:113], s[2:3], v[122:123]
	v_add_f64 v[138:139], v[12:13], v[138:139]
	v_add_f64 v[130:131], v[130:131], v[132:133]
	v_fma_f64 v[132:133], v[88:89], s[16:17], v[96:97]
	v_fma_f64 v[88:89], v[88:89], s[16:17], -v[96:97]
	v_add_f64 v[98:99], v[12:13], v[98:99]
	v_add_f64 v[12:13], v[12:13], v[78:79]
	v_fma_f64 v[96:97], v[102:103], s[2:3], -v[100:101]
	v_add_f64 v[134:135], v[134:135], v[136:137]
	v_fma_f64 v[136:137], v[110:111], s[10:11], -v[120:121]
	v_add_f64 v[128:129], v[128:129], v[130:131]
	v_mul_f64 v[130:131], v[92:93], s[22:23]
	v_add_f64 v[12:13], v[12:13], v[68:69]
	v_add_f64 v[96:97], v[14:15], v[96:97]
	;; [unrolled: 1-line block ×5, first 2 shown]
	v_mul_f64 v[128:129], v[90:91], s[26:27]
	v_fma_f64 v[92:93], v[82:83], s[20:21], v[130:131]
	v_fma_f64 v[82:83], v[82:83], s[20:21], -v[130:131]
	v_add_f64 v[12:13], v[12:13], v[58:59]
	v_add_f64 v[94:95], v[94:95], v[96:97]
	v_add_f64 v[14:15], v[14:15], v[76:77]
	v_fma_f64 v[96:97], v[110:111], s[10:11], v[120:121]
	v_fma_f64 v[134:135], v[108:109], s[16:17], -v[118:119]
	v_add_f64 v[136:137], v[136:137], v[138:139]
	v_fma_f64 v[90:91], v[80:81], s[24:25], v[128:129]
	v_fma_f64 v[80:81], v[80:81], s[24:25], -v[128:129]
	v_add_f64 v[12:13], v[12:13], v[54:55]
	v_add_f64 v[88:89], v[88:89], v[94:95]
	;; [unrolled: 1-line block ×3, first 2 shown]
	v_fma_f64 v[94:95], v[108:109], s[16:17], v[118:119]
	v_add_f64 v[96:97], v[96:97], v[98:99]
	v_add_f64 v[92:93], v[92:93], v[132:133]
	v_fma_f64 v[132:133], v[106:107], s[20:21], -v[116:117]
	v_add_f64 v[134:135], v[134:135], v[136:137]
	v_add_f64 v[12:13], v[12:13], v[46:47]
	;; [unrolled: 1-line block ×4, first 2 shown]
	v_fma_f64 v[88:89], v[106:107], s[20:21], v[116:117]
	v_add_f64 v[94:95], v[94:95], v[96:97]
	v_add_f64 v[92:93], v[90:91], v[92:93]
	v_fma_f64 v[90:91], v[104:105], s[24:25], -v[114:115]
	v_add_f64 v[132:133], v[132:133], v[134:135]
	v_add_f64 v[12:13], v[12:13], v[44:45]
	buffer_load_dword v44, off, s[44:47], 0 offset:732 ; 4-byte Folded Reload
	buffer_load_dword v45, off, s[44:47], 0 offset:736 ; 4-byte Folded Reload
	v_add_f64 v[14:15], v[14:15], v[60:61]
	v_add_f64 v[82:83], v[80:81], v[82:83]
	v_fma_f64 v[80:81], v[104:105], s[24:25], v[114:115]
	v_add_f64 v[88:89], v[88:89], v[94:95]
	v_add_f64 v[90:91], v[90:91], v[132:133]
	;; [unrolled: 1-line block ×12, first 2 shown]
	s_waitcnt vmcnt(1)
	v_mul_u32_u24_e32 v44, 0x4d, v44
	s_waitcnt vmcnt(0)
	v_add_lshl_u32 v44, v44, v45, 4
	ds_write_b128 v44, v[12:15]
	ds_write_b128 v44, v[80:83] offset:112
	ds_write_b128 v44, v[124:127] offset:224
	;; [unrolled: 1-line block ×10, first 2 shown]
.LBB0_9:
	s_or_b64 exec, exec, s[38:39]
	s_waitcnt lgkmcnt(0)
	; wave barrier
	s_waitcnt lgkmcnt(0)
	ds_read_b128 v[12:15], v254 offset:6160
	buffer_load_dword v18, off, s[44:47], 0 offset:1288 ; 4-byte Folded Reload
	buffer_load_dword v19, off, s[44:47], 0 offset:1292 ; 4-byte Folded Reload
	;; [unrolled: 1-line block ×4, first 2 shown]
	s_mov_b32 s8, 0x134454ff
	s_mov_b32 s9, 0xbfee6f0e
	;; [unrolled: 1-line block ×10, first 2 shown]
	s_waitcnt vmcnt(0) lgkmcnt(0)
	v_mul_f64 v[16:17], v[20:21], v[14:15]
	v_fma_f64 v[16:17], v[18:19], v[12:13], v[16:17]
	v_mul_f64 v[12:13], v[20:21], v[12:13]
	v_fma_f64 v[18:19], v[18:19], v[14:15], -v[12:13]
	ds_read_b128 v[12:15], v254 offset:12320
	buffer_load_dword v22, off, s[44:47], 0 offset:1272 ; 4-byte Folded Reload
	buffer_load_dword v23, off, s[44:47], 0 offset:1276 ; 4-byte Folded Reload
	;; [unrolled: 1-line block ×4, first 2 shown]
	s_waitcnt vmcnt(0) lgkmcnt(0)
	v_mul_f64 v[20:21], v[24:25], v[14:15]
	v_fma_f64 v[20:21], v[22:23], v[12:13], v[20:21]
	v_mul_f64 v[12:13], v[24:25], v[12:13]
	v_fma_f64 v[22:23], v[22:23], v[14:15], -v[12:13]
	ds_read_b128 v[12:15], v254 offset:18480
	buffer_load_dword v26, off, s[44:47], 0 offset:1256 ; 4-byte Folded Reload
	buffer_load_dword v27, off, s[44:47], 0 offset:1260 ; 4-byte Folded Reload
	;; [unrolled: 1-line block ×4, first 2 shown]
	s_waitcnt vmcnt(0) lgkmcnt(0)
	v_mul_f64 v[24:25], v[28:29], v[14:15]
	v_fma_f64 v[32:33], v[26:27], v[12:13], v[24:25]
	v_mul_f64 v[12:13], v[28:29], v[12:13]
	v_add_f64 v[130:131], v[20:21], -v[32:33]
	v_fma_f64 v[34:35], v[26:27], v[14:15], -v[12:13]
	ds_read_b128 v[12:15], v254 offset:24640
	buffer_load_dword v26, off, s[44:47], 0 offset:1240 ; 4-byte Folded Reload
	buffer_load_dword v27, off, s[44:47], 0 offset:1244 ; 4-byte Folded Reload
	;; [unrolled: 1-line block ×4, first 2 shown]
	v_add_f64 v[30:31], v[22:23], v[34:35]
	v_add_f64 v[44:45], v[22:23], -v[34:35]
	s_waitcnt vmcnt(0) lgkmcnt(0)
	v_mul_f64 v[24:25], v[28:29], v[14:15]
	v_fma_f64 v[36:37], v[26:27], v[12:13], v[24:25]
	v_mul_f64 v[12:13], v[28:29], v[12:13]
	v_add_f64 v[128:129], v[16:17], -v[36:37]
	v_fma_f64 v[40:41], v[26:27], v[14:15], -v[12:13]
	ds_read_b128 v[12:15], v254 offset:7040
	buffer_load_dword v26, off, s[44:47], 0 offset:1352 ; 4-byte Folded Reload
	buffer_load_dword v27, off, s[44:47], 0 offset:1356 ; 4-byte Folded Reload
	;; [unrolled: 1-line block ×4, first 2 shown]
	v_add_f64 v[42:43], v[18:19], -v[40:41]
	s_waitcnt vmcnt(0) lgkmcnt(0)
	v_mul_f64 v[24:25], v[28:29], v[14:15]
	v_fma_f64 v[136:137], v[26:27], v[12:13], v[24:25]
	v_mul_f64 v[12:13], v[28:29], v[12:13]
	v_fma_f64 v[140:141], v[26:27], v[14:15], -v[12:13]
	ds_read_b128 v[12:15], v254 offset:13200
	buffer_load_dword v26, off, s[44:47], 0 offset:1336 ; 4-byte Folded Reload
	buffer_load_dword v27, off, s[44:47], 0 offset:1340 ; 4-byte Folded Reload
	;; [unrolled: 1-line block ×4, first 2 shown]
	s_waitcnt vmcnt(0) lgkmcnt(0)
	v_mul_f64 v[24:25], v[28:29], v[14:15]
	v_fma_f64 v[138:139], v[26:27], v[12:13], v[24:25]
	v_mul_f64 v[12:13], v[28:29], v[12:13]
	v_fma_f64 v[142:143], v[26:27], v[14:15], -v[12:13]
	ds_read_b128 v[12:15], v254 offset:19360
	buffer_load_dword v26, off, s[44:47], 0 offset:1320 ; 4-byte Folded Reload
	buffer_load_dword v27, off, s[44:47], 0 offset:1324 ; 4-byte Folded Reload
	;; [unrolled: 1-line block ×4, first 2 shown]
	s_waitcnt vmcnt(0) lgkmcnt(0)
	v_mul_f64 v[24:25], v[28:29], v[14:15]
	v_fma_f64 v[144:145], v[26:27], v[12:13], v[24:25]
	v_mul_f64 v[12:13], v[28:29], v[12:13]
	v_add_f64 v[154:155], v[138:139], -v[144:145]
	v_fma_f64 v[146:147], v[26:27], v[14:15], -v[12:13]
	ds_read_b128 v[12:15], v254 offset:25520
	buffer_load_dword v26, off, s[44:47], 0 offset:1304 ; 4-byte Folded Reload
	buffer_load_dword v27, off, s[44:47], 0 offset:1308 ; 4-byte Folded Reload
	;; [unrolled: 1-line block ×4, first 2 shown]
	s_waitcnt vmcnt(0) lgkmcnt(0)
	v_mul_f64 v[24:25], v[28:29], v[14:15]
	v_fma_f64 v[148:149], v[26:27], v[12:13], v[24:25]
	v_mul_f64 v[12:13], v[28:29], v[12:13]
	v_add_f64 v[152:153], v[136:137], -v[148:149]
	v_fma_f64 v[150:151], v[26:27], v[14:15], -v[12:13]
	ds_read_b128 v[12:15], v254 offset:7920
	buffer_load_dword v26, off, s[44:47], 0 offset:1416 ; 4-byte Folded Reload
	buffer_load_dword v27, off, s[44:47], 0 offset:1420 ; 4-byte Folded Reload
	buffer_load_dword v28, off, s[44:47], 0 offset:1424 ; 4-byte Folded Reload
	buffer_load_dword v29, off, s[44:47], 0 offset:1428 ; 4-byte Folded Reload
	s_waitcnt vmcnt(0) lgkmcnt(0)
	v_mul_f64 v[24:25], v[28:29], v[14:15]
	v_fma_f64 v[116:117], v[26:27], v[12:13], v[24:25]
	v_mul_f64 v[12:13], v[28:29], v[12:13]
	v_fma_f64 v[112:113], v[26:27], v[14:15], -v[12:13]
	ds_read_b128 v[12:15], v254 offset:14080
	buffer_load_dword v26, off, s[44:47], 0 offset:1400 ; 4-byte Folded Reload
	buffer_load_dword v27, off, s[44:47], 0 offset:1404 ; 4-byte Folded Reload
	buffer_load_dword v28, off, s[44:47], 0 offset:1408 ; 4-byte Folded Reload
	buffer_load_dword v29, off, s[44:47], 0 offset:1412 ; 4-byte Folded Reload
	s_waitcnt vmcnt(0) lgkmcnt(0)
	v_mul_f64 v[24:25], v[28:29], v[14:15]
	v_fma_f64 v[122:123], v[26:27], v[12:13], v[24:25]
	v_mul_f64 v[12:13], v[28:29], v[12:13]
	;; [unrolled: 10-line block ×20, first 2 shown]
	v_add_f64 v[28:29], v[20:21], v[32:33]
	v_fma_f64 v[60:61], v[26:27], v[14:15], -v[12:13]
	v_add_f64 v[12:13], v[16:17], -v[20:21]
	v_add_f64 v[14:15], v[36:37], -v[32:33]
	v_add_f64 v[24:25], v[12:13], v[14:15]
	v_add_f64 v[12:13], v[18:19], -v[22:23]
	v_add_f64 v[14:15], v[40:41], -v[34:35]
	v_add_f64 v[26:27], v[12:13], v[14:15]
	ds_read_b128 v[12:15], v254
	s_waitcnt lgkmcnt(0)
	v_fma_f64 v[38:39], v[28:29], -0.5, v[12:13]
	v_fma_f64 v[46:47], v[30:31], -0.5, v[14:15]
	v_fma_f64 v[28:29], v[42:43], s[8:9], v[38:39]
	v_fma_f64 v[30:31], v[128:129], s[14:15], v[46:47]
	;; [unrolled: 1-line block ×12, first 2 shown]
	v_add_f64 v[38:39], v[16:17], v[36:37]
	v_add_f64 v[46:47], v[18:19], v[40:41]
	v_fma_f64 v[38:39], v[38:39], -0.5, v[12:13]
	v_fma_f64 v[46:47], v[46:47], -0.5, v[14:15]
	v_add_f64 v[12:13], v[12:13], v[16:17]
	v_add_f64 v[14:15], v[14:15], v[18:19]
	v_add_f64 v[16:17], v[20:21], -v[16:17]
	v_add_f64 v[12:13], v[12:13], v[20:21]
	v_add_f64 v[14:15], v[14:15], v[22:23]
	v_fma_f64 v[20:21], v[44:45], s[14:15], v[38:39]
	v_fma_f64 v[44:45], v[44:45], s[8:9], v[38:39]
	v_add_f64 v[12:13], v[12:13], v[32:33]
	v_add_f64 v[14:15], v[14:15], v[34:35]
	v_add_f64 v[32:33], v[32:33], -v[36:37]
	v_fma_f64 v[20:21], v[42:43], s[0:1], v[20:21]
	v_add_f64 v[36:37], v[12:13], v[36:37]
	v_add_f64 v[38:39], v[14:15], v[40:41]
	v_add_f64 v[12:13], v[22:23], -v[18:19]
	v_add_f64 v[14:15], v[34:35], -v[40:41]
	v_fma_f64 v[18:19], v[130:131], s[8:9], v[46:47]
	v_fma_f64 v[22:23], v[130:131], s[14:15], v[46:47]
	v_add_f64 v[16:17], v[16:17], v[32:33]
	v_fma_f64 v[32:33], v[42:43], s[2:3], v[44:45]
	v_add_f64 v[34:35], v[142:143], -v[146:147]
	v_add_f64 v[12:13], v[12:13], v[14:15]
	v_fma_f64 v[14:15], v[128:129], s[2:3], v[18:19]
	v_fma_f64 v[18:19], v[128:129], s[0:1], v[22:23]
	;; [unrolled: 1-line block ×4, first 2 shown]
	v_add_f64 v[20:21], v[138:139], v[144:145]
	v_add_f64 v[22:23], v[140:141], -v[150:151]
	v_add_f64 v[128:129], v[142:143], v[146:147]
	v_fma_f64 v[46:47], v[12:13], s[10:11], v[14:15]
	v_fma_f64 v[42:43], v[12:13], s[10:11], v[18:19]
	v_add_f64 v[12:13], v[136:137], -v[138:139]
	v_add_f64 v[14:15], v[148:149], -v[144:145]
	v_add_f64 v[16:17], v[12:13], v[14:15]
	v_add_f64 v[12:13], v[140:141], -v[142:143]
	v_add_f64 v[14:15], v[150:151], -v[146:147]
	v_add_f64 v[18:19], v[12:13], v[14:15]
	ds_read_b128 v[12:15], v254 offset:880
	s_waitcnt lgkmcnt(0)
	v_fma_f64 v[20:21], v[20:21], -0.5, v[12:13]
	v_fma_f64 v[132:133], v[128:129], -0.5, v[14:15]
	v_fma_f64 v[32:33], v[22:23], s[8:9], v[20:21]
	v_fma_f64 v[128:129], v[152:153], s[14:15], v[132:133]
	v_fma_f64 v[20:21], v[22:23], s[14:15], v[20:21]
	v_fma_f64 v[32:33], v[34:35], s[0:1], v[32:33]
	v_fma_f64 v[130:131], v[154:155], s[2:3], v[128:129]
	v_fma_f64 v[20:21], v[34:35], s[2:3], v[20:21]
	v_fma_f64 v[128:129], v[16:17], s[10:11], v[32:33]
	v_fma_f64 v[32:33], v[152:153], s[8:9], v[132:133]
	v_fma_f64 v[130:131], v[18:19], s[10:11], v[130:131]
	v_fma_f64 v[132:133], v[16:17], s[10:11], v[20:21]
	v_add_f64 v[16:17], v[136:137], v[148:149]
	v_add_f64 v[20:21], v[138:139], -v[136:137]
	v_fma_f64 v[32:33], v[154:155], s[0:1], v[32:33]
	v_fma_f64 v[16:17], v[16:17], -0.5, v[12:13]
	v_add_f64 v[12:13], v[12:13], v[136:137]
	v_fma_f64 v[134:135], v[18:19], s[10:11], v[32:33]
	v_add_f64 v[18:19], v[140:141], v[150:151]
	v_fma_f64 v[32:33], v[34:35], s[14:15], v[16:17]
	;; [unrolled: 2-line block ×3, first 2 shown]
	v_add_f64 v[34:35], v[144:145], -v[148:149]
	v_fma_f64 v[18:19], v[18:19], -0.5, v[14:15]
	v_add_f64 v[14:15], v[14:15], v[140:141]
	v_fma_f64 v[32:33], v[22:23], s[0:1], v[32:33]
	v_add_f64 v[12:13], v[12:13], v[144:145]
	v_fma_f64 v[16:17], v[22:23], s[2:3], v[16:17]
	v_add_f64 v[20:21], v[20:21], v[34:35]
	v_add_f64 v[14:15], v[14:15], v[142:143]
	;; [unrolled: 1-line block ×3, first 2 shown]
	v_add_f64 v[12:13], v[142:143], -v[140:141]
	v_fma_f64 v[140:141], v[154:155], s[8:9], v[18:19]
	v_fma_f64 v[18:19], v[154:155], s[14:15], v[18:19]
	;; [unrolled: 1-line block ×3, first 2 shown]
	v_add_f64 v[14:15], v[14:15], v[146:147]
	v_fma_f64 v[18:19], v[152:153], s[0:1], v[18:19]
	v_add_f64 v[138:139], v[14:15], v[150:151]
	v_add_f64 v[14:15], v[146:147], -v[150:151]
	v_add_f64 v[12:13], v[12:13], v[14:15]
	v_fma_f64 v[14:15], v[152:153], s[2:3], v[140:141]
	v_fma_f64 v[140:141], v[20:21], s[10:11], v[32:33]
	;; [unrolled: 1-line block ×4, first 2 shown]
	ds_read_b128 v[12:15], v254 offset:5280
	ds_read_b128 v[148:151], v254 offset:1760
	;; [unrolled: 1-line block ×5, first 2 shown]
	s_waitcnt lgkmcnt(0)
	; wave barrier
	s_waitcnt lgkmcnt(0)
	ds_write_b128 v254, v[36:39]
	ds_write_b128 v254, v[28:31] offset:1232
	ds_write_b128 v254, v[44:47] offset:2464
	;; [unrolled: 1-line block ×4, first 2 shown]
	buffer_load_dword v24, off, s[44:47], 0 offset:1880 ; 4-byte Folded Reload
	s_waitcnt vmcnt(0)
	ds_write_b128 v24, v[136:139]
	ds_write_b128 v24, v[128:131] offset:1232
	ds_write_b128 v24, v[140:143] offset:2464
	;; [unrolled: 1-line block ×4, first 2 shown]
	v_add_f64 v[24:25], v[122:123], -v[116:117]
	v_add_f64 v[26:27], v[120:121], -v[126:127]
	;; [unrolled: 1-line block ×6, first 2 shown]
	v_add_f64 v[128:129], v[148:149], v[116:117]
	v_add_f64 v[130:131], v[150:151], v[112:113]
	v_add_f64 v[28:29], v[24:25], v[26:27]
	v_add_f64 v[24:25], v[114:115], -v[112:113]
	v_add_f64 v[26:27], v[118:119], -v[124:125]
	v_add_f64 v[128:129], v[128:129], v[122:123]
	v_add_f64 v[30:31], v[24:25], v[26:27]
	;; [unrolled: 1-line block ×4, first 2 shown]
	v_add_f64 v[116:117], v[116:117], -v[122:123]
	v_add_f64 v[112:113], v[112:113], -v[114:115]
	v_fma_f64 v[36:37], v[24:25], -0.5, v[148:149]
	v_fma_f64 v[42:43], v[26:27], -0.5, v[150:151]
	v_fma_f64 v[24:25], v[40:41], s[14:15], v[36:37]
	v_fma_f64 v[36:37], v[40:41], s[8:9], v[36:37]
	;; [unrolled: 1-line block ×10, first 2 shown]
	v_add_f64 v[36:37], v[122:123], v[120:121]
	v_fma_f64 v[26:27], v[30:31], s[10:11], v[26:27]
	v_fma_f64 v[30:31], v[30:31], s[10:11], v[42:43]
	v_add_f64 v[42:43], v[114:115], v[118:119]
	v_fma_f64 v[36:37], v[36:37], -0.5, v[148:149]
	v_fma_f64 v[42:43], v[42:43], -0.5, v[150:151]
	v_fma_f64 v[122:123], v[38:39], s[8:9], v[36:37]
	v_fma_f64 v[132:133], v[38:39], s[14:15], v[36:37]
	v_add_f64 v[36:37], v[130:131], v[114:115]
	v_add_f64 v[38:39], v[128:129], v[120:121]
	v_add_f64 v[120:121], v[126:127], -v[120:121]
	v_add_f64 v[114:115], v[124:125], -v[118:119]
	v_add_f64 v[128:129], v[36:37], v[118:119]
	v_fma_f64 v[118:119], v[46:47], s[14:15], v[42:43]
	v_fma_f64 v[42:43], v[46:47], s[8:9], v[42:43]
	v_add_f64 v[46:47], v[116:117], v[120:121]
	v_fma_f64 v[116:117], v[40:41], s[0:1], v[122:123]
	v_fma_f64 v[120:121], v[40:41], s[2:3], v[132:133]
	v_add_f64 v[112:113], v[112:113], v[114:115]
	v_add_f64 v[36:37], v[38:39], v[126:127]
	;; [unrolled: 1-line block ×3, first 2 shown]
	v_fma_f64 v[114:115], v[44:45], s[2:3], v[118:119]
	v_fma_f64 v[118:119], v[44:45], s[0:1], v[42:43]
	;; [unrolled: 1-line block ×6, first 2 shown]
	buffer_load_dword v112, off, s[44:47], 0 offset:1844 ; 4-byte Folded Reload
	s_waitcnt vmcnt(0)
	ds_write_b128 v112, v[36:39]
	ds_write_b128 v112, v[40:43] offset:1232
	ds_write_b128 v112, v[24:27] offset:2464
	;; [unrolled: 1-line block ×4, first 2 shown]
	v_add_f64 v[24:25], v[104:105], -v[100:101]
	v_add_f64 v[26:27], v[106:107], -v[110:111]
	;; [unrolled: 1-line block ×6, first 2 shown]
	v_add_f64 v[28:29], v[24:25], v[26:27]
	v_add_f64 v[24:25], v[98:99], -v[96:97]
	v_add_f64 v[26:27], v[102:103], -v[108:109]
	v_add_f64 v[30:31], v[24:25], v[26:27]
	v_add_f64 v[26:27], v[96:97], v[108:109]
	;; [unrolled: 1-line block ×3, first 2 shown]
	v_fma_f64 v[42:43], v[26:27], -0.5, v[34:35]
	v_fma_f64 v[36:37], v[24:25], -0.5, v[32:33]
	v_fma_f64 v[26:27], v[44:45], s[8:9], v[42:43]
	v_fma_f64 v[42:43], v[44:45], s[14:15], v[42:43]
	;; [unrolled: 1-line block ×10, first 2 shown]
	v_add_f64 v[42:43], v[98:99], v[102:103]
	v_fma_f64 v[24:25], v[28:29], s[10:11], v[24:25]
	v_fma_f64 v[28:29], v[28:29], s[10:11], v[36:37]
	v_add_f64 v[36:37], v[104:105], v[106:107]
	v_fma_f64 v[42:43], v[42:43], -0.5, v[34:35]
	v_add_f64 v[34:35], v[34:35], v[96:97]
	v_add_f64 v[96:97], v[96:97], -v[98:99]
	v_fma_f64 v[36:37], v[36:37], -0.5, v[32:33]
	v_add_f64 v[32:33], v[32:33], v[100:101]
	v_add_f64 v[100:101], v[100:101], -v[104:105]
	v_add_f64 v[34:35], v[34:35], v[98:99]
	v_add_f64 v[98:99], v[108:109], -v[102:103]
	v_add_f64 v[32:33], v[32:33], v[104:105]
	v_fma_f64 v[104:105], v[40:41], s[8:9], v[36:37]
	v_fma_f64 v[36:37], v[40:41], s[14:15], v[36:37]
	v_add_f64 v[40:41], v[110:111], -v[106:107]
	v_add_f64 v[34:35], v[34:35], v[102:103]
	v_fma_f64 v[102:103], v[46:47], s[14:15], v[42:43]
	v_fma_f64 v[42:43], v[46:47], s[8:9], v[42:43]
	v_add_f64 v[32:33], v[32:33], v[106:107]
	v_fma_f64 v[46:47], v[38:39], s[0:1], v[104:105]
	v_add_f64 v[96:97], v[96:97], v[98:99]
	v_add_f64 v[40:41], v[100:101], v[40:41]
	v_fma_f64 v[100:101], v[38:39], s[2:3], v[36:37]
	v_add_f64 v[34:35], v[34:35], v[108:109]
	v_fma_f64 v[38:39], v[44:45], s[2:3], v[102:103]
	v_fma_f64 v[42:43], v[44:45], s[0:1], v[42:43]
	buffer_load_dword v44, off, s[44:47], 0 offset:1792 ; 4-byte Folded Reload
	v_add_f64 v[32:33], v[32:33], v[110:111]
	v_fma_f64 v[36:37], v[40:41], s[10:11], v[46:47]
	v_fma_f64 v[40:41], v[40:41], s[10:11], v[100:101]
	;; [unrolled: 1-line block ×4, first 2 shown]
	s_waitcnt vmcnt(0)
	ds_write_b128 v44, v[32:35] offset:12320
	ds_write_b128 v44, v[36:39] offset:13552
	;; [unrolled: 1-line block ×5, first 2 shown]
	v_add_f64 v[24:25], v[90:91], -v[84:85]
	v_add_f64 v[26:27], v[88:89], -v[94:95]
	;; [unrolled: 1-line block ×7, first 2 shown]
	v_add_f64 v[28:29], v[24:25], v[26:27]
	v_add_f64 v[24:25], v[82:83], -v[80:81]
	v_add_f64 v[26:27], v[86:87], -v[92:93]
	v_add_f64 v[30:31], v[24:25], v[26:27]
	v_add_f64 v[24:25], v[84:85], v[94:95]
	;; [unrolled: 1-line block ×3, first 2 shown]
	v_fma_f64 v[32:33], v[24:25], -0.5, v[20:21]
	v_fma_f64 v[38:39], v[26:27], -0.5, v[22:23]
	v_fma_f64 v[24:25], v[34:35], s[14:15], v[32:33]
	v_fma_f64 v[26:27], v[40:41], s[8:9], v[38:39]
	;; [unrolled: 1-line block ×12, first 2 shown]
	v_add_f64 v[32:33], v[90:91], v[88:89]
	v_add_f64 v[38:39], v[82:83], v[86:87]
	v_fma_f64 v[32:33], v[32:33], -0.5, v[20:21]
	v_fma_f64 v[38:39], v[38:39], -0.5, v[22:23]
	v_add_f64 v[20:21], v[20:21], v[84:85]
	v_add_f64 v[22:23], v[22:23], v[80:81]
	v_add_f64 v[80:81], v[80:81], -v[82:83]
	v_fma_f64 v[46:47], v[36:37], s[8:9], v[32:33]
	v_fma_f64 v[32:33], v[36:37], s[14:15], v[32:33]
	v_add_f64 v[36:37], v[94:95], -v[88:89]
	v_fma_f64 v[84:85], v[42:43], s[14:15], v[38:39]
	v_fma_f64 v[38:39], v[42:43], s[8:9], v[38:39]
	v_add_f64 v[20:21], v[20:21], v[90:91]
	v_add_f64 v[22:23], v[22:23], v[82:83]
	v_add_f64 v[82:83], v[92:93], -v[86:87]
	v_fma_f64 v[42:43], v[34:35], s[0:1], v[46:47]
	v_add_f64 v[36:37], v[44:45], v[36:37]
	v_fma_f64 v[44:45], v[34:35], s[2:3], v[32:33]
	v_fma_f64 v[34:35], v[40:41], s[2:3], v[84:85]
	v_fma_f64 v[38:39], v[40:41], s[0:1], v[38:39]
	buffer_load_dword v40, off, s[44:47], 0 offset:1772 ; 4-byte Folded Reload
	v_add_f64 v[20:21], v[20:21], v[88:89]
	v_add_f64 v[22:23], v[22:23], v[86:87]
	;; [unrolled: 1-line block ×3, first 2 shown]
	v_fma_f64 v[32:33], v[36:37], s[10:11], v[42:43]
	v_fma_f64 v[36:37], v[36:37], s[10:11], v[44:45]
	v_add_f64 v[44:45], v[64:65], -v[66:67]
	v_add_f64 v[20:21], v[20:21], v[94:95]
	v_add_f64 v[22:23], v[22:23], v[92:93]
	v_fma_f64 v[34:35], v[46:47], s[10:11], v[34:35]
	v_fma_f64 v[38:39], v[46:47], s[10:11], v[38:39]
	s_waitcnt vmcnt(0)
	ds_write_b128 v40, v[20:23]
	ds_write_b128 v40, v[32:35] offset:1232
	ds_write_b128 v40, v[24:27] offset:2464
	;; [unrolled: 1-line block ×4, first 2 shown]
	v_add_f64 v[20:21], v[72:73], -v[68:69]
	v_add_f64 v[22:23], v[74:75], -v[78:79]
	;; [unrolled: 1-line block ×8, first 2 shown]
	v_add_f64 v[24:25], v[20:21], v[22:23]
	v_add_f64 v[20:21], v[66:67], -v[64:65]
	v_add_f64 v[22:23], v[70:71], -v[76:77]
	v_add_f64 v[26:27], v[20:21], v[22:23]
	v_add_f64 v[20:21], v[68:69], v[78:79]
	;; [unrolled: 1-line block ×3, first 2 shown]
	v_fma_f64 v[28:29], v[20:21], -0.5, v[16:17]
	v_fma_f64 v[34:35], v[22:23], -0.5, v[18:19]
	v_fma_f64 v[20:21], v[30:31], s[14:15], v[28:29]
	v_fma_f64 v[22:23], v[36:37], s[8:9], v[34:35]
	;; [unrolled: 1-line block ×12, first 2 shown]
	v_add_f64 v[28:29], v[72:73], v[74:75]
	v_add_f64 v[34:35], v[66:67], v[70:71]
	v_fma_f64 v[28:29], v[28:29], -0.5, v[16:17]
	v_fma_f64 v[34:35], v[34:35], -0.5, v[18:19]
	v_add_f64 v[16:17], v[16:17], v[68:69]
	v_add_f64 v[18:19], v[18:19], v[64:65]
	v_fma_f64 v[42:43], v[32:33], s[8:9], v[28:29]
	v_fma_f64 v[28:29], v[32:33], s[14:15], v[28:29]
	v_add_f64 v[16:17], v[16:17], v[72:73]
	v_add_f64 v[18:19], v[18:19], v[66:67]
	v_add_f64 v[32:33], v[78:79], -v[74:75]
	v_fma_f64 v[64:65], v[38:39], s[14:15], v[34:35]
	v_fma_f64 v[34:35], v[38:39], s[8:9], v[34:35]
	v_fma_f64 v[38:39], v[30:31], s[0:1], v[42:43]
	v_add_f64 v[42:43], v[44:45], v[46:47]
	v_add_f64 v[16:17], v[16:17], v[74:75]
	;; [unrolled: 1-line block ×4, first 2 shown]
	v_fma_f64 v[40:41], v[30:31], s[2:3], v[28:29]
	v_fma_f64 v[30:31], v[36:37], s[2:3], v[64:65]
	;; [unrolled: 1-line block ×3, first 2 shown]
	v_add_f64 v[36:37], v[52:53], -v[58:59]
	v_add_f64 v[16:17], v[16:17], v[78:79]
	v_add_f64 v[18:19], v[18:19], v[76:77]
	v_fma_f64 v[28:29], v[32:33], s[10:11], v[38:39]
	v_fma_f64 v[32:33], v[32:33], s[10:11], v[40:41]
	;; [unrolled: 1-line block ×4, first 2 shown]
	ds_write_b128 v211, v[16:19]
	ds_write_b128 v211, v[28:31] offset:1232
	ds_write_b128 v211, v[20:23] offset:2464
	;; [unrolled: 1-line block ×4, first 2 shown]
	v_add_f64 v[16:17], v[58:59], -v[52:53]
	v_add_f64 v[18:19], v[56:57], -v[62:63]
	;; [unrolled: 1-line block ×8, first 2 shown]
	v_add_f64 v[20:21], v[16:17], v[18:19]
	v_add_f64 v[16:17], v[50:51], -v[48:49]
	v_add_f64 v[18:19], v[54:55], -v[60:61]
	v_add_f64 v[22:23], v[16:17], v[18:19]
	v_add_f64 v[16:17], v[52:53], v[62:63]
	;; [unrolled: 1-line block ×3, first 2 shown]
	v_fma_f64 v[24:25], v[16:17], -0.5, v[12:13]
	v_fma_f64 v[30:31], v[18:19], -0.5, v[14:15]
	v_fma_f64 v[16:17], v[26:27], s[14:15], v[24:25]
	v_fma_f64 v[18:19], v[32:33], s[8:9], v[30:31]
	;; [unrolled: 1-line block ×12, first 2 shown]
	v_add_f64 v[24:25], v[58:59], v[56:57]
	v_add_f64 v[30:31], v[50:51], v[54:55]
	v_fma_f64 v[24:25], v[24:25], -0.5, v[12:13]
	v_fma_f64 v[30:31], v[30:31], -0.5, v[14:15]
	v_add_f64 v[12:13], v[12:13], v[52:53]
	v_add_f64 v[14:15], v[14:15], v[48:49]
	v_fma_f64 v[38:39], v[28:29], s[8:9], v[24:25]
	v_fma_f64 v[24:25], v[28:29], s[14:15], v[24:25]
	v_add_f64 v[12:13], v[12:13], v[58:59]
	v_add_f64 v[14:15], v[14:15], v[50:51]
	v_add_f64 v[28:29], v[62:63], -v[56:57]
	v_fma_f64 v[44:45], v[34:35], s[14:15], v[30:31]
	v_fma_f64 v[30:31], v[34:35], s[8:9], v[30:31]
	;; [unrolled: 1-line block ×3, first 2 shown]
	v_add_f64 v[38:39], v[40:41], v[42:43]
	v_add_f64 v[12:13], v[12:13], v[56:57]
	;; [unrolled: 1-line block ×4, first 2 shown]
	v_fma_f64 v[36:37], v[26:27], s[2:3], v[24:25]
	v_fma_f64 v[26:27], v[32:33], s[2:3], v[44:45]
	;; [unrolled: 1-line block ×3, first 2 shown]
	v_add_f64 v[12:13], v[12:13], v[62:63]
	v_add_f64 v[14:15], v[14:15], v[60:61]
	v_fma_f64 v[24:25], v[28:29], s[10:11], v[34:35]
	v_fma_f64 v[28:29], v[28:29], s[10:11], v[36:37]
	;; [unrolled: 1-line block ×4, first 2 shown]
	ds_write_b128 v210, v[12:15] offset:24640
	ds_write_b128 v210, v[24:27] offset:25872
	ds_write_b128 v210, v[16:19] offset:27104
	ds_write_b128 v210, v[20:23] offset:28336
	ds_write_b128 v210, v[28:31] offset:29568
	s_waitcnt lgkmcnt(0)
	; wave barrier
	s_waitcnt lgkmcnt(0)
	ds_read_b128 v[12:15], v254 offset:6160
	buffer_load_dword v18, off, s[44:47], 0 offset:1740 ; 4-byte Folded Reload
	buffer_load_dword v19, off, s[44:47], 0 offset:1744 ; 4-byte Folded Reload
	buffer_load_dword v20, off, s[44:47], 0 offset:1748 ; 4-byte Folded Reload
	buffer_load_dword v21, off, s[44:47], 0 offset:1752 ; 4-byte Folded Reload
	s_waitcnt vmcnt(0) lgkmcnt(0)
	v_mul_f64 v[16:17], v[20:21], v[14:15]
	v_fma_f64 v[16:17], v[18:19], v[12:13], v[16:17]
	v_mul_f64 v[12:13], v[20:21], v[12:13]
	v_fma_f64 v[18:19], v[18:19], v[14:15], -v[12:13]
	ds_read_b128 v[12:15], v254 offset:12320
	buffer_load_dword v22, off, s[44:47], 0 offset:1776 ; 4-byte Folded Reload
	buffer_load_dword v23, off, s[44:47], 0 offset:1780 ; 4-byte Folded Reload
	buffer_load_dword v24, off, s[44:47], 0 offset:1784 ; 4-byte Folded Reload
	buffer_load_dword v25, off, s[44:47], 0 offset:1788 ; 4-byte Folded Reload
	s_waitcnt vmcnt(0) lgkmcnt(0)
	v_mul_f64 v[20:21], v[24:25], v[14:15]
	v_fma_f64 v[20:21], v[22:23], v[12:13], v[20:21]
	v_mul_f64 v[12:13], v[24:25], v[12:13]
	v_fma_f64 v[22:23], v[22:23], v[14:15], -v[12:13]
	ds_read_b128 v[12:15], v254 offset:18480
	buffer_load_dword v26, off, s[44:47], 0 offset:1756 ; 4-byte Folded Reload
	buffer_load_dword v27, off, s[44:47], 0 offset:1760 ; 4-byte Folded Reload
	buffer_load_dword v28, off, s[44:47], 0 offset:1764 ; 4-byte Folded Reload
	buffer_load_dword v29, off, s[44:47], 0 offset:1768 ; 4-byte Folded Reload
	s_waitcnt vmcnt(0) lgkmcnt(0)
	v_mul_f64 v[24:25], v[28:29], v[14:15]
	v_fma_f64 v[24:25], v[26:27], v[12:13], v[24:25]
	v_mul_f64 v[12:13], v[28:29], v[12:13]
	v_add_f64 v[132:133], v[20:21], -v[24:25]
	v_fma_f64 v[26:27], v[26:27], v[14:15], -v[12:13]
	ds_read_b128 v[12:15], v254 offset:24640
	buffer_load_dword v30, off, s[44:47], 0 offset:1724 ; 4-byte Folded Reload
	buffer_load_dword v31, off, s[44:47], 0 offset:1728 ; 4-byte Folded Reload
	buffer_load_dword v32, off, s[44:47], 0 offset:1732 ; 4-byte Folded Reload
	buffer_load_dword v33, off, s[44:47], 0 offset:1736 ; 4-byte Folded Reload
	s_waitcnt vmcnt(0) lgkmcnt(0)
	v_mul_f64 v[28:29], v[32:33], v[14:15]
	v_fma_f64 v[28:29], v[30:31], v[12:13], v[28:29]
	v_mul_f64 v[12:13], v[32:33], v[12:13]
	v_add_f64 v[130:131], v[16:17], -v[28:29]
	v_fma_f64 v[30:31], v[30:31], v[14:15], -v[12:13]
	ds_read_b128 v[12:15], v254 offset:7040
	buffer_load_dword v34, off, s[44:47], 0 offset:1812 ; 4-byte Folded Reload
	buffer_load_dword v35, off, s[44:47], 0 offset:1816 ; 4-byte Folded Reload
	buffer_load_dword v36, off, s[44:47], 0 offset:1820 ; 4-byte Folded Reload
	buffer_load_dword v37, off, s[44:47], 0 offset:1824 ; 4-byte Folded Reload
	s_waitcnt vmcnt(0) lgkmcnt(0)
	v_mul_f64 v[32:33], v[36:37], v[14:15]
	v_fma_f64 v[32:33], v[34:35], v[12:13], v[32:33]
	v_mul_f64 v[12:13], v[36:37], v[12:13]
	v_fma_f64 v[34:35], v[34:35], v[14:15], -v[12:13]
	ds_read_b128 v[12:15], v254 offset:13200
	buffer_load_dword v38, off, s[44:47], 0 offset:1828 ; 4-byte Folded Reload
	buffer_load_dword v39, off, s[44:47], 0 offset:1832 ; 4-byte Folded Reload
	buffer_load_dword v40, off, s[44:47], 0 offset:1836 ; 4-byte Folded Reload
	buffer_load_dword v41, off, s[44:47], 0 offset:1840 ; 4-byte Folded Reload
	s_waitcnt vmcnt(0) lgkmcnt(0)
	v_mul_f64 v[36:37], v[40:41], v[14:15]
	v_fma_f64 v[36:37], v[38:39], v[12:13], v[36:37]
	v_mul_f64 v[12:13], v[40:41], v[12:13]
	v_fma_f64 v[38:39], v[38:39], v[14:15], -v[12:13]
	ds_read_b128 v[12:15], v254 offset:19360
	buffer_load_dword v42, off, s[44:47], 0 offset:1796 ; 4-byte Folded Reload
	buffer_load_dword v43, off, s[44:47], 0 offset:1800 ; 4-byte Folded Reload
	buffer_load_dword v44, off, s[44:47], 0 offset:1804 ; 4-byte Folded Reload
	buffer_load_dword v45, off, s[44:47], 0 offset:1808 ; 4-byte Folded Reload
	s_waitcnt vmcnt(0) lgkmcnt(0)
	v_mul_f64 v[40:41], v[44:45], v[14:15]
	v_fma_f64 v[40:41], v[42:43], v[12:13], v[40:41]
	v_mul_f64 v[12:13], v[44:45], v[12:13]
	v_add_f64 v[138:139], v[36:37], -v[40:41]
	v_fma_f64 v[42:43], v[42:43], v[14:15], -v[12:13]
	ds_read_b128 v[12:15], v254 offset:25520
	buffer_load_dword v46, off, s[44:47], 0 offset:1496 ; 4-byte Folded Reload
	buffer_load_dword v47, off, s[44:47], 0 offset:1500 ; 4-byte Folded Reload
	buffer_load_dword v48, off, s[44:47], 0 offset:1504 ; 4-byte Folded Reload
	buffer_load_dword v49, off, s[44:47], 0 offset:1508 ; 4-byte Folded Reload
	s_waitcnt vmcnt(0) lgkmcnt(0)
	v_mul_f64 v[44:45], v[48:49], v[14:15]
	v_fma_f64 v[44:45], v[46:47], v[12:13], v[44:45]
	v_mul_f64 v[12:13], v[48:49], v[12:13]
	v_add_f64 v[136:137], v[32:33], -v[44:45]
	v_fma_f64 v[46:47], v[46:47], v[14:15], -v[12:13]
	;; [unrolled: 42-line block ×3, first 2 shown]
	ds_read_b128 v[12:15], v254 offset:8800
	s_waitcnt lgkmcnt(0)
	v_mul_f64 v[48:49], v[214:215], v[14:15]
	v_fma_f64 v[112:113], v[212:213], v[12:13], v[48:49]
	v_mul_f64 v[12:13], v[214:215], v[12:13]
	v_fma_f64 v[108:109], v[212:213], v[14:15], -v[12:13]
	ds_read_b128 v[12:15], v254 offset:14960
	s_waitcnt lgkmcnt(0)
	v_mul_f64 v[48:49], v[218:219], v[14:15]
	v_fma_f64 v[116:117], v[216:217], v[12:13], v[48:49]
	v_mul_f64 v[12:13], v[218:219], v[12:13]
	v_fma_f64 v[110:111], v[216:217], v[14:15], -v[12:13]
	ds_read_b128 v[12:15], v254 offset:21120
	buffer_load_dword v60, off, s[44:47], 0 offset:1900 ; 4-byte Folded Reload
	buffer_load_dword v61, off, s[44:47], 0 offset:1904 ; 4-byte Folded Reload
	;; [unrolled: 1-line block ×4, first 2 shown]
	s_waitcnt vmcnt(0) lgkmcnt(0)
	v_mul_f64 v[48:49], v[62:63], v[14:15]
	v_fma_f64 v[118:119], v[60:61], v[12:13], v[48:49]
	v_mul_f64 v[12:13], v[62:63], v[12:13]
	v_add_f64 v[146:147], v[116:117], -v[118:119]
	v_fma_f64 v[114:115], v[60:61], v[14:15], -v[12:13]
	ds_read_b128 v[12:15], v254 offset:27280
	buffer_load_dword v60, off, s[44:47], 0 offset:4 ; 4-byte Folded Reload
	buffer_load_dword v61, off, s[44:47], 0 offset:8 ; 4-byte Folded Reload
	;; [unrolled: 1-line block ×4, first 2 shown]
	s_waitcnt vmcnt(0) lgkmcnt(0)
	v_mul_f64 v[48:49], v[62:63], v[14:15]
	v_fma_f64 v[134:135], v[60:61], v[12:13], v[48:49]
	v_mul_f64 v[12:13], v[62:63], v[12:13]
	v_add_f64 v[144:145], v[112:113], -v[134:135]
	v_fma_f64 v[120:121], v[60:61], v[14:15], -v[12:13]
	ds_read_b128 v[12:15], v254 offset:9680
	s_waitcnt lgkmcnt(0)
	v_mul_f64 v[48:49], v[234:235], v[14:15]
	v_fma_f64 v[96:97], v[232:233], v[12:13], v[48:49]
	v_mul_f64 v[12:13], v[234:235], v[12:13]
	v_fma_f64 v[92:93], v[232:233], v[14:15], -v[12:13]
	ds_read_b128 v[12:15], v254 offset:15840
	s_waitcnt lgkmcnt(0)
	v_mul_f64 v[48:49], v[230:231], v[14:15]
	v_fma_f64 v[102:103], v[228:229], v[12:13], v[48:49]
	v_mul_f64 v[12:13], v[230:231], v[12:13]
	;; [unrolled: 6-line block ×3, first 2 shown]
	v_add_f64 v[150:151], v[102:103], -v[100:101]
	v_fma_f64 v[98:99], v[224:225], v[14:15], -v[12:13]
	ds_read_b128 v[12:15], v254 offset:28160
	s_waitcnt lgkmcnt(0)
	v_mul_f64 v[48:49], v[222:223], v[14:15]
	v_fma_f64 v[106:107], v[220:221], v[12:13], v[48:49]
	v_mul_f64 v[12:13], v[222:223], v[12:13]
	v_fma_f64 v[104:105], v[220:221], v[14:15], -v[12:13]
	ds_read_b128 v[12:15], v254 offset:10560
	s_waitcnt lgkmcnt(0)
	v_mul_f64 v[48:49], v[250:251], v[14:15]
	v_fma_f64 v[80:81], v[248:249], v[12:13], v[48:49]
	v_mul_f64 v[12:13], v[250:251], v[12:13]
	;; [unrolled: 6-line block ×4, first 2 shown]
	v_add_f64 v[154:155], v[84:85], -v[86:87]
	v_fma_f64 v[82:83], v[240:241], v[14:15], -v[12:13]
	ds_read_b128 v[12:15], v254 offset:29040
	s_waitcnt lgkmcnt(0)
	v_mul_f64 v[48:49], v[238:239], v[14:15]
	v_fma_f64 v[90:91], v[236:237], v[12:13], v[48:49]
	v_mul_f64 v[12:13], v[238:239], v[12:13]
	v_fma_f64 v[88:89], v[236:237], v[14:15], -v[12:13]
	ds_read_b128 v[12:15], v254 offset:11440
	s_waitcnt lgkmcnt(0)
	v_mul_f64 v[48:49], v[10:11], v[14:15]
	v_mul_f64 v[10:11], v[10:11], v[12:13]
	v_fma_f64 v[64:65], v[8:9], v[12:13], v[48:49]
	v_fma_f64 v[60:61], v[8:9], v[14:15], -v[10:11]
	ds_read_b128 v[8:11], v254 offset:17600
	v_add_f64 v[14:15], v[18:19], -v[30:31]
	v_add_f64 v[48:49], v[22:23], -v[26:27]
	s_waitcnt lgkmcnt(0)
	v_mul_f64 v[12:13], v[6:7], v[10:11]
	v_mul_f64 v[6:7], v[6:7], v[8:9]
	v_fma_f64 v[70:71], v[4:5], v[8:9], v[12:13]
	v_fma_f64 v[62:63], v[4:5], v[10:11], -v[6:7]
	ds_read_b128 v[4:7], v254 offset:23760
	s_waitcnt lgkmcnt(0)
	v_mul_f64 v[8:9], v[2:3], v[6:7]
	v_mul_f64 v[2:3], v[2:3], v[4:5]
	v_fma_f64 v[68:69], v[0:1], v[4:5], v[8:9]
	v_fma_f64 v[66:67], v[0:1], v[6:7], -v[2:3]
	ds_read_b128 v[0:3], v254 offset:29920
	ds_read_b128 v[8:11], v254
	v_add_f64 v[6:7], v[22:23], v[26:27]
	s_waitcnt lgkmcnt(1)
	v_mul_f64 v[4:5], v[206:207], v[2:3]
	v_add_f64 v[158:159], v[70:71], -v[68:69]
	s_waitcnt lgkmcnt(0)
	v_fma_f64 v[50:51], v[6:7], -0.5, v[10:11]
	v_fma_f64 v[74:75], v[204:205], v[0:1], v[4:5]
	v_mul_f64 v[0:1], v[206:207], v[0:1]
	v_add_f64 v[4:5], v[30:31], -v[26:27]
	v_fma_f64 v[6:7], v[130:131], s[14:15], v[50:51]
	v_fma_f64 v[50:51], v[130:131], s[8:9], v[50:51]
	v_fma_f64 v[72:73], v[204:205], v[2:3], -v[0:1]
	v_add_f64 v[0:1], v[16:17], -v[20:21]
	v_add_f64 v[2:3], v[28:29], -v[24:25]
	v_fma_f64 v[6:7], v[132:133], s[2:3], v[6:7]
	v_fma_f64 v[50:51], v[132:133], s[0:1], v[50:51]
	v_add_f64 v[0:1], v[0:1], v[2:3]
	v_add_f64 v[2:3], v[18:19], -v[22:23]
	v_add_f64 v[2:3], v[2:3], v[4:5]
	v_add_f64 v[4:5], v[20:21], v[24:25]
	v_fma_f64 v[6:7], v[2:3], s[10:11], v[6:7]
	v_fma_f64 v[12:13], v[4:5], -0.5, v[8:9]
	v_fma_f64 v[2:3], v[2:3], s[10:11], v[50:51]
	v_add_f64 v[50:51], v[18:19], v[30:31]
	v_fma_f64 v[4:5], v[14:15], s[8:9], v[12:13]
	v_fma_f64 v[12:13], v[14:15], s[14:15], v[12:13]
	v_fma_f64 v[50:51], v[50:51], -0.5, v[10:11]
	v_add_f64 v[10:11], v[10:11], v[18:19]
	v_add_f64 v[18:19], v[22:23], -v[18:19]
	v_fma_f64 v[4:5], v[48:49], s[0:1], v[4:5]
	v_fma_f64 v[12:13], v[48:49], s[2:3], v[12:13]
	v_add_f64 v[10:11], v[10:11], v[22:23]
	v_add_f64 v[22:23], v[26:27], -v[30:31]
	v_fma_f64 v[4:5], v[0:1], s[10:11], v[4:5]
	v_fma_f64 v[0:1], v[0:1], s[10:11], v[12:13]
	v_add_f64 v[12:13], v[16:17], v[28:29]
	v_add_f64 v[10:11], v[10:11], v[26:27]
	v_fma_f64 v[26:27], v[132:133], s[8:9], v[50:51]
	v_fma_f64 v[12:13], v[12:13], -0.5, v[8:9]
	v_add_f64 v[8:9], v[8:9], v[16:17]
	v_add_f64 v[16:17], v[20:21], -v[16:17]
	v_add_f64 v[10:11], v[10:11], v[30:31]
	v_add_f64 v[8:9], v[8:9], v[20:21]
	v_fma_f64 v[20:21], v[48:49], s[14:15], v[12:13]
	v_fma_f64 v[12:13], v[48:49], s[8:9], v[12:13]
	v_add_f64 v[8:9], v[8:9], v[24:25]
	v_add_f64 v[24:25], v[24:25], -v[28:29]
	v_fma_f64 v[12:13], v[14:15], s[2:3], v[12:13]
	v_add_f64 v[8:9], v[8:9], v[28:29]
	v_fma_f64 v[28:29], v[132:133], s[14:15], v[50:51]
	v_add_f64 v[24:25], v[16:17], v[24:25]
	;; [unrolled: 2-line block ×3, first 2 shown]
	v_fma_f64 v[18:19], v[130:131], s[2:3], v[26:27]
	v_add_f64 v[22:23], v[44:45], -v[40:41]
	v_add_f64 v[50:51], v[34:35], -v[46:47]
	v_add_f64 v[26:27], v[38:39], v[42:43]
	v_fma_f64 v[20:21], v[130:131], s[0:1], v[28:29]
	v_fma_f64 v[12:13], v[24:25], s[10:11], v[12:13]
	v_fma_f64 v[16:17], v[24:25], s[10:11], v[16:17]
	v_add_f64 v[24:25], v[46:47], -v[42:43]
	v_fma_f64 v[18:19], v[14:15], s[10:11], v[18:19]
	ds_read_b128 v[28:31], v254 offset:880
	v_add_f64 v[130:131], v[38:39], -v[42:43]
	v_fma_f64 v[14:15], v[14:15], s[10:11], v[20:21]
	v_add_f64 v[20:21], v[32:33], -v[36:37]
	s_waitcnt lgkmcnt(0)
	v_fma_f64 v[132:133], v[26:27], -0.5, v[30:31]
	v_add_f64 v[20:21], v[20:21], v[22:23]
	v_add_f64 v[22:23], v[34:35], -v[38:39]
	v_fma_f64 v[26:27], v[136:137], s[14:15], v[132:133]
	v_fma_f64 v[132:133], v[136:137], s[8:9], v[132:133]
	v_add_f64 v[22:23], v[22:23], v[24:25]
	v_add_f64 v[24:25], v[36:37], v[40:41]
	v_fma_f64 v[26:27], v[138:139], s[2:3], v[26:27]
	v_fma_f64 v[132:133], v[138:139], s[0:1], v[132:133]
	v_fma_f64 v[48:49], v[24:25], -0.5, v[28:29]
	v_fma_f64 v[26:27], v[22:23], s[10:11], v[26:27]
	v_fma_f64 v[22:23], v[22:23], s[10:11], v[132:133]
	v_add_f64 v[132:133], v[34:35], v[46:47]
	v_fma_f64 v[24:25], v[50:51], s[8:9], v[48:49]
	v_fma_f64 v[48:49], v[50:51], s[14:15], v[48:49]
	v_fma_f64 v[132:133], v[132:133], -0.5, v[30:31]
	v_add_f64 v[30:31], v[30:31], v[34:35]
	v_add_f64 v[34:35], v[38:39], -v[34:35]
	v_fma_f64 v[24:25], v[130:131], s[0:1], v[24:25]
	v_fma_f64 v[48:49], v[130:131], s[2:3], v[48:49]
	v_add_f64 v[30:31], v[30:31], v[38:39]
	v_add_f64 v[38:39], v[42:43], -v[46:47]
	v_fma_f64 v[24:25], v[20:21], s[10:11], v[24:25]
	v_fma_f64 v[20:21], v[20:21], s[10:11], v[48:49]
	v_add_f64 v[48:49], v[32:33], v[44:45]
	v_add_f64 v[30:31], v[30:31], v[42:43]
	v_fma_f64 v[42:43], v[138:139], s[8:9], v[132:133]
	v_add_f64 v[34:35], v[34:35], v[38:39]
	v_fma_f64 v[48:49], v[48:49], -0.5, v[28:29]
	v_add_f64 v[28:29], v[28:29], v[32:33]
	v_add_f64 v[32:33], v[36:37], -v[32:33]
	v_fma_f64 v[38:39], v[136:137], s[2:3], v[42:43]
	v_add_f64 v[30:31], v[30:31], v[46:47]
	v_add_f64 v[46:47], v[58:59], v[124:125]
	;; [unrolled: 1-line block ×3, first 2 shown]
	v_fma_f64 v[36:37], v[130:131], s[14:15], v[48:49]
	v_fma_f64 v[48:49], v[130:131], s[8:9], v[48:49]
	;; [unrolled: 1-line block ×3, first 2 shown]
	v_add_f64 v[28:29], v[28:29], v[40:41]
	v_add_f64 v[40:41], v[40:41], -v[44:45]
	v_fma_f64 v[36:37], v[50:51], s[0:1], v[36:37]
	v_add_f64 v[28:29], v[28:29], v[44:45]
	v_fma_f64 v[44:45], v[138:139], s[14:15], v[132:133]
	v_add_f64 v[32:33], v[32:33], v[40:41]
	v_fma_f64 v[40:41], v[50:51], s[2:3], v[48:49]
	ds_read_b128 v[48:51], v254 offset:1760
	v_add_f64 v[132:133], v[54:55], -v[128:129]
	v_fma_f64 v[42:43], v[136:137], s[0:1], v[44:45]
	v_fma_f64 v[36:37], v[32:33], s[10:11], v[36:37]
	;; [unrolled: 1-line block ×3, first 2 shown]
	v_add_f64 v[40:41], v[52:53], -v[56:57]
	v_add_f64 v[44:45], v[128:129], -v[124:125]
	;; [unrolled: 1-line block ×3, first 2 shown]
	s_waitcnt lgkmcnt(0)
	v_fma_f64 v[138:139], v[46:47], -0.5, v[50:51]
	v_fma_f64 v[34:35], v[34:35], s[10:11], v[42:43]
	v_add_f64 v[42:43], v[126:127], -v[122:123]
	v_fma_f64 v[46:47], v[140:141], s[14:15], v[138:139]
	v_fma_f64 v[138:139], v[140:141], s[8:9], v[138:139]
	v_add_f64 v[40:41], v[40:41], v[42:43]
	v_add_f64 v[42:43], v[54:55], -v[58:59]
	v_fma_f64 v[46:47], v[142:143], s[2:3], v[46:47]
	v_fma_f64 v[138:139], v[142:143], s[0:1], v[138:139]
	v_add_f64 v[42:43], v[42:43], v[44:45]
	v_add_f64 v[44:45], v[56:57], v[122:123]
	v_fma_f64 v[46:47], v[42:43], s[10:11], v[46:47]
	v_fma_f64 v[130:131], v[44:45], -0.5, v[48:49]
	v_fma_f64 v[42:43], v[42:43], s[10:11], v[138:139]
	v_add_f64 v[138:139], v[54:55], v[128:129]
	v_fma_f64 v[44:45], v[132:133], s[8:9], v[130:131]
	v_fma_f64 v[130:131], v[132:133], s[14:15], v[130:131]
	v_fma_f64 v[138:139], v[138:139], -0.5, v[50:51]
	v_add_f64 v[50:51], v[50:51], v[54:55]
	v_add_f64 v[54:55], v[58:59], -v[54:55]
	v_fma_f64 v[44:45], v[136:137], s[0:1], v[44:45]
	v_fma_f64 v[130:131], v[136:137], s[2:3], v[130:131]
	v_add_f64 v[50:51], v[50:51], v[58:59]
	v_add_f64 v[58:59], v[124:125], -v[128:129]
	v_fma_f64 v[44:45], v[40:41], s[10:11], v[44:45]
	v_fma_f64 v[40:41], v[40:41], s[10:11], v[130:131]
	v_add_f64 v[130:131], v[52:53], v[126:127]
	v_add_f64 v[50:51], v[50:51], v[124:125]
	v_fma_f64 v[124:125], v[142:143], s[8:9], v[138:139]
	v_add_f64 v[54:55], v[54:55], v[58:59]
	v_fma_f64 v[130:131], v[130:131], -0.5, v[48:49]
	v_add_f64 v[48:49], v[48:49], v[52:53]
	v_add_f64 v[52:53], v[56:57], -v[52:53]
	v_fma_f64 v[58:59], v[140:141], s[2:3], v[124:125]
	v_add_f64 v[50:51], v[50:51], v[128:129]
	v_add_f64 v[128:129], v[110:111], v[114:115]
	v_add_f64 v[48:49], v[48:49], v[56:57]
	v_fma_f64 v[56:57], v[136:137], s[14:15], v[130:131]
	v_fma_f64 v[130:131], v[136:137], s[8:9], v[130:131]
	;; [unrolled: 1-line block ×3, first 2 shown]
	v_add_f64 v[48:49], v[48:49], v[122:123]
	v_add_f64 v[122:123], v[122:123], -v[126:127]
	v_fma_f64 v[56:57], v[132:133], s[0:1], v[56:57]
	v_add_f64 v[48:49], v[48:49], v[126:127]
	v_fma_f64 v[126:127], v[142:143], s[14:15], v[138:139]
	v_add_f64 v[52:53], v[52:53], v[122:123]
	v_fma_f64 v[122:123], v[132:133], s[2:3], v[130:131]
	v_add_f64 v[138:139], v[108:109], -v[120:121]
	v_fma_f64 v[124:125], v[140:141], s[0:1], v[126:127]
	v_fma_f64 v[56:57], v[52:53], s[10:11], v[56:57]
	;; [unrolled: 1-line block ×3, first 2 shown]
	v_add_f64 v[122:123], v[112:113], -v[116:117]
	v_add_f64 v[126:127], v[116:117], v[118:119]
	v_add_f64 v[140:141], v[110:111], -v[114:115]
	v_fma_f64 v[54:55], v[54:55], s[10:11], v[124:125]
	v_add_f64 v[124:125], v[134:135], -v[118:119]
	v_add_f64 v[130:131], v[122:123], v[124:125]
	v_add_f64 v[122:123], v[108:109], -v[110:111]
	v_add_f64 v[124:125], v[120:121], -v[114:115]
	v_add_f64 v[132:133], v[122:123], v[124:125]
	ds_read_b128 v[122:125], v254 offset:2640
	s_waitcnt lgkmcnt(0)
	v_fma_f64 v[136:137], v[126:127], -0.5, v[122:123]
	v_fma_f64 v[142:143], v[128:129], -0.5, v[124:125]
	v_fma_f64 v[126:127], v[138:139], s[8:9], v[136:137]
	v_fma_f64 v[128:129], v[144:145], s[14:15], v[142:143]
	;; [unrolled: 1-line block ×12, first 2 shown]
	v_add_f64 v[136:137], v[112:113], v[134:135]
	v_add_f64 v[142:143], v[108:109], v[120:121]
	v_fma_f64 v[136:137], v[136:137], -0.5, v[122:123]
	v_fma_f64 v[142:143], v[142:143], -0.5, v[124:125]
	v_add_f64 v[122:123], v[122:123], v[112:113]
	v_add_f64 v[124:125], v[124:125], v[108:109]
	v_add_f64 v[112:113], v[116:117], -v[112:113]
	v_add_f64 v[108:109], v[110:111], -v[108:109]
	v_fma_f64 v[148:149], v[140:141], s[14:15], v[136:137]
	v_fma_f64 v[136:137], v[140:141], s[8:9], v[136:137]
	v_add_f64 v[122:123], v[122:123], v[116:117]
	v_add_f64 v[116:117], v[124:125], v[110:111]
	v_add_f64 v[140:141], v[118:119], -v[134:135]
	v_add_f64 v[110:111], v[114:115], -v[120:121]
	v_add_f64 v[122:123], v[122:123], v[118:119]
	v_add_f64 v[124:125], v[116:117], v[114:115]
	v_fma_f64 v[114:115], v[146:147], s[8:9], v[142:143]
	v_add_f64 v[112:113], v[112:113], v[140:141]
	v_add_f64 v[116:117], v[122:123], v[134:135]
	;; [unrolled: 1-line block ×3, first 2 shown]
	v_fma_f64 v[120:121], v[146:147], s[14:15], v[142:143]
	v_fma_f64 v[122:123], v[138:139], s[0:1], v[148:149]
	;; [unrolled: 1-line block ×3, first 2 shown]
	v_add_f64 v[134:135], v[108:109], v[110:111]
	v_fma_f64 v[110:111], v[144:145], s[2:3], v[114:115]
	v_add_f64 v[136:137], v[94:95], v[98:99]
	v_add_f64 v[142:143], v[92:93], -v[104:105]
	v_add_f64 v[148:149], v[96:97], -v[106:107]
	v_fma_f64 v[114:115], v[144:145], s[0:1], v[120:121]
	v_fma_f64 v[108:109], v[112:113], s[10:11], v[122:123]
	v_add_f64 v[120:121], v[96:97], -v[102:103]
	v_add_f64 v[122:123], v[106:107], -v[100:101]
	v_fma_f64 v[112:113], v[112:113], s[10:11], v[124:125]
	v_fma_f64 v[110:111], v[134:135], s[10:11], v[110:111]
	v_add_f64 v[144:145], v[94:95], -v[98:99]
	v_fma_f64 v[114:115], v[134:135], s[10:11], v[114:115]
	v_add_f64 v[134:135], v[102:103], v[100:101]
	v_add_f64 v[124:125], v[120:121], v[122:123]
	v_add_f64 v[120:121], v[92:93], -v[94:95]
	v_add_f64 v[122:123], v[104:105], -v[98:99]
	v_add_f64 v[140:141], v[120:121], v[122:123]
	ds_read_b128 v[120:123], v254 offset:3520
	s_waitcnt lgkmcnt(0)
	v_fma_f64 v[138:139], v[134:135], -0.5, v[120:121]
	v_fma_f64 v[146:147], v[136:137], -0.5, v[122:123]
	v_fma_f64 v[134:135], v[142:143], s[8:9], v[138:139]
	v_fma_f64 v[136:137], v[148:149], s[14:15], v[146:147]
	;; [unrolled: 1-line block ×12, first 2 shown]
	v_add_f64 v[124:125], v[96:97], v[106:107]
	v_add_f64 v[146:147], v[92:93], v[104:105]
	v_fma_f64 v[124:125], v[124:125], -0.5, v[120:121]
	v_fma_f64 v[146:147], v[146:147], -0.5, v[122:123]
	v_add_f64 v[120:121], v[120:121], v[96:97]
	v_add_f64 v[122:123], v[122:123], v[92:93]
	v_add_f64 v[96:97], v[102:103], -v[96:97]
	v_add_f64 v[92:93], v[94:95], -v[92:93]
	v_fma_f64 v[152:153], v[144:145], s[14:15], v[124:125]
	v_fma_f64 v[124:125], v[144:145], s[8:9], v[124:125]
	v_add_f64 v[120:121], v[120:121], v[102:103]
	v_add_f64 v[102:103], v[122:123], v[94:95]
	v_add_f64 v[122:123], v[100:101], -v[106:107]
	v_add_f64 v[94:95], v[98:99], -v[104:105]
	v_add_f64 v[120:121], v[120:121], v[100:101]
	v_add_f64 v[102:103], v[102:103], v[98:99]
	v_fma_f64 v[98:99], v[150:151], s[8:9], v[146:147]
	v_add_f64 v[96:97], v[96:97], v[122:123]
	v_add_f64 v[122:123], v[92:93], v[94:95]
	;; [unrolled: 1-line block ×4, first 2 shown]
	v_fma_f64 v[104:105], v[150:151], s[14:15], v[146:147]
	v_fma_f64 v[106:107], v[142:143], s[0:1], v[152:153]
	;; [unrolled: 1-line block ×4, first 2 shown]
	v_add_f64 v[146:147], v[76:77], -v[88:89]
	v_add_f64 v[152:153], v[80:81], -v[90:91]
	v_fma_f64 v[98:99], v[148:149], s[0:1], v[104:105]
	v_fma_f64 v[92:93], v[96:97], s[10:11], v[106:107]
	v_add_f64 v[104:105], v[80:81], -v[84:85]
	v_add_f64 v[106:107], v[90:91], -v[86:87]
	v_fma_f64 v[94:95], v[122:123], s[10:11], v[94:95]
	v_fma_f64 v[96:97], v[96:97], s[10:11], v[120:121]
	v_add_f64 v[120:121], v[84:85], v[86:87]
	v_add_f64 v[148:149], v[78:79], -v[82:83]
	v_fma_f64 v[98:99], v[122:123], s[10:11], v[98:99]
	v_add_f64 v[122:123], v[78:79], v[82:83]
	v_add_f64 v[124:125], v[104:105], v[106:107]
	v_add_f64 v[104:105], v[76:77], -v[78:79]
	v_add_f64 v[106:107], v[88:89], -v[82:83]
	v_add_f64 v[144:145], v[104:105], v[106:107]
	ds_read_b128 v[104:107], v254 offset:4400
	s_waitcnt lgkmcnt(0)
	v_fma_f64 v[142:143], v[120:121], -0.5, v[104:105]
	v_fma_f64 v[150:151], v[122:123], -0.5, v[106:107]
	v_fma_f64 v[120:121], v[146:147], s[8:9], v[142:143]
	v_fma_f64 v[122:123], v[152:153], s[14:15], v[150:151]
	;; [unrolled: 1-line block ×12, first 2 shown]
	v_add_f64 v[124:125], v[80:81], v[90:91]
	v_add_f64 v[150:151], v[76:77], v[88:89]
	v_fma_f64 v[124:125], v[124:125], -0.5, v[104:105]
	v_fma_f64 v[150:151], v[150:151], -0.5, v[106:107]
	v_add_f64 v[104:105], v[104:105], v[80:81]
	v_add_f64 v[106:107], v[106:107], v[76:77]
	v_add_f64 v[80:81], v[84:85], -v[80:81]
	v_add_f64 v[76:77], v[78:79], -v[76:77]
	v_fma_f64 v[156:157], v[148:149], s[14:15], v[124:125]
	v_fma_f64 v[124:125], v[148:149], s[8:9], v[124:125]
	v_add_f64 v[104:105], v[104:105], v[84:85]
	v_add_f64 v[84:85], v[106:107], v[78:79]
	v_add_f64 v[148:149], v[86:87], -v[90:91]
	v_add_f64 v[78:79], v[82:83], -v[88:89]
	v_add_f64 v[104:105], v[104:105], v[86:87]
	v_add_f64 v[106:107], v[84:85], v[82:83]
	v_fma_f64 v[82:83], v[154:155], s[8:9], v[150:151]
	v_add_f64 v[80:81], v[80:81], v[148:149]
	v_add_f64 v[84:85], v[104:105], v[90:91]
	;; [unrolled: 1-line block ×3, first 2 shown]
	v_fma_f64 v[88:89], v[154:155], s[14:15], v[150:151]
	v_fma_f64 v[90:91], v[146:147], s[0:1], v[156:157]
	v_add_f64 v[106:107], v[76:77], v[78:79]
	v_fma_f64 v[78:79], v[152:153], s[2:3], v[82:83]
	v_fma_f64 v[104:105], v[146:147], s[2:3], v[124:125]
	v_add_f64 v[150:151], v[60:61], -v[72:73]
	v_add_f64 v[156:157], v[64:65], -v[74:75]
	v_fma_f64 v[82:83], v[152:153], s[0:1], v[88:89]
	v_fma_f64 v[76:77], v[80:81], s[10:11], v[90:91]
	v_add_f64 v[88:89], v[64:65], -v[70:71]
	v_add_f64 v[90:91], v[74:75], -v[68:69]
	v_fma_f64 v[78:79], v[106:107], s[10:11], v[78:79]
	v_fma_f64 v[80:81], v[80:81], s[10:11], v[104:105]
	v_add_f64 v[104:105], v[70:71], v[68:69]
	v_add_f64 v[152:153], v[62:63], -v[66:67]
	v_fma_f64 v[82:83], v[106:107], s[10:11], v[82:83]
	v_add_f64 v[106:107], v[62:63], v[66:67]
	v_add_f64 v[124:125], v[88:89], v[90:91]
	v_add_f64 v[88:89], v[60:61], -v[62:63]
	v_add_f64 v[90:91], v[72:73], -v[66:67]
	v_add_f64 v[148:149], v[88:89], v[90:91]
	ds_read_b128 v[88:91], v254 offset:5280
	ds_write_b128 v254, v[8:11]
	ds_write_b128 v254, v[4:7] offset:6160
	ds_write_b128 v254, v[16:19] offset:12320
	;; [unrolled: 1-line block ×10, first 2 shown]
	buffer_load_dword v0, off, s[44:47], 0 offset:484 ; 4-byte Folded Reload
	buffer_load_dword v1, off, s[44:47], 0 offset:488 ; 4-byte Folded Reload
	v_mov_b32_e32 v24, s13
	s_waitcnt lgkmcnt(11)
	v_fma_f64 v[146:147], v[104:105], -0.5, v[88:89]
	v_fma_f64 v[154:155], v[106:107], -0.5, v[90:91]
	v_fma_f64 v[104:105], v[150:151], s[8:9], v[146:147]
	v_fma_f64 v[106:107], v[156:157], s[14:15], v[154:155]
	;; [unrolled: 1-line block ×12, first 2 shown]
	v_add_f64 v[124:125], v[64:65], v[74:75]
	v_add_f64 v[154:155], v[60:61], v[72:73]
	v_fma_f64 v[124:125], v[124:125], -0.5, v[88:89]
	v_fma_f64 v[154:155], v[154:155], -0.5, v[90:91]
	v_add_f64 v[88:89], v[88:89], v[64:65]
	v_add_f64 v[90:91], v[90:91], v[60:61]
	v_add_f64 v[64:65], v[70:71], -v[64:65]
	v_add_f64 v[60:61], v[62:63], -v[60:61]
	v_fma_f64 v[160:161], v[152:153], s[14:15], v[124:125]
	v_fma_f64 v[124:125], v[152:153], s[8:9], v[124:125]
	v_add_f64 v[88:89], v[88:89], v[70:71]
	v_add_f64 v[70:71], v[90:91], v[62:63]
	v_add_f64 v[90:91], v[68:69], -v[74:75]
	v_add_f64 v[62:63], v[66:67], -v[72:73]
	v_add_f64 v[88:89], v[88:89], v[68:69]
	v_add_f64 v[70:71], v[70:71], v[66:67]
	v_fma_f64 v[66:67], v[158:159], s[8:9], v[154:155]
	v_add_f64 v[64:65], v[64:65], v[90:91]
	v_add_f64 v[90:91], v[60:61], v[62:63]
	v_add_f64 v[68:69], v[88:89], v[74:75]
	v_add_f64 v[70:71], v[70:71], v[72:73]
	v_fma_f64 v[72:73], v[158:159], s[14:15], v[154:155]
	v_fma_f64 v[74:75], v[150:151], s[0:1], v[160:161]
	;; [unrolled: 1-line block ×8, first 2 shown]
	s_waitcnt vmcnt(0)
	v_mov_b32_e32 v1, v0
	v_mad_u64_u32 v[12:13], s[0:1], s6, v1, 0
	v_fma_f64 v[66:67], v[90:91], s[10:11], v[66:67]
	ds_write_b128 v254, v[44:47] offset:7920
	ds_write_b128 v254, v[56:59] offset:14080
	;; [unrolled: 1-line block ×24, first 2 shown]
	s_waitcnt lgkmcnt(0)
	; wave barrier
	s_waitcnt lgkmcnt(0)
	ds_read_b128 v[4:7], v254
	buffer_load_dword v18, off, s[44:47], 0 offset:636 ; 4-byte Folded Reload
	buffer_load_dword v19, off, s[44:47], 0 offset:640 ; 4-byte Folded Reload
	;; [unrolled: 1-line block ×4, first 2 shown]
	v_mov_b32_e32 v0, v13
	v_mad_u64_u32 v[10:11], s[0:1], s7, v1, v[0:1]
	ds_read_b128 v[0:3], v254 offset:880
	s_mul_hi_u32 s6, s4, 0xffff9c50
	v_mov_b32_e32 v13, v10
	s_sub_i32 s6, s6, s4
	s_waitcnt vmcnt(0) lgkmcnt(1)
	v_mul_f64 v[8:9], v[20:21], v[6:7]
	v_mul_f64 v[14:15], v[20:21], v[4:5]
	v_fma_f64 v[4:5], v[18:19], v[4:5], v[8:9]
	buffer_load_dword v9, off, s[44:47], 0  ; 4-byte Folded Reload
	v_fma_f64 v[6:7], v[18:19], v[6:7], -v[14:15]
	v_lshlrev_b64 v[18:19], 4, v[12:13]
	v_add_co_u32_e32 v25, vcc, s12, v18
	v_addc_co_u32_e32 v26, vcc, v24, v19, vcc
	s_waitcnt vmcnt(0)
	v_mad_u64_u32 v[16:17], s[0:1], s4, v9, 0
	s_mov_b32 s0, 0xebc93598
	s_mov_b32 s1, 0x3f4105b7
	v_mov_b32_e32 v8, v17
	v_mad_u64_u32 v[14:15], s[2:3], s5, v9, v[8:9]
	ds_read_b128 v[8:11], v254 offset:4400
	v_mul_f64 v[4:5], v[4:5], s[0:1]
	v_mov_b32_e32 v17, v14
	ds_read_b128 v[12:15], v254 offset:3520
	buffer_load_dword v27, off, s[44:47], 0 offset:164 ; 4-byte Folded Reload
	buffer_load_dword v28, off, s[44:47], 0 offset:168 ; 4-byte Folded Reload
	;; [unrolled: 1-line block ×4, first 2 shown]
	v_mul_f64 v[6:7], v[6:7], s[0:1]
	v_lshlrev_b64 v[16:17], 4, v[16:17]
	s_mul_i32 s2, s5, 0x1130
	v_add_co_u32_e32 v24, vcc, v25, v16
	v_addc_co_u32_e32 v25, vcc, v26, v17, vcc
	s_mul_hi_u32 s3, s4, 0x1130
	global_store_dwordx4 v[24:25], v[4:7], off
	s_add_i32 s2, s3, s2
	s_mul_i32 s3, s4, 0x1130
	v_mov_b32_e32 v35, s2
	v_add_co_u32_e32 v34, vcc, s3, v24
	v_addc_co_u32_e32 v35, vcc, v25, v35, vcc
	v_mov_b32_e32 v43, s2
	s_mulk_i32 s5, 0x9c50
	s_add_i32 s5, s6, s5
	s_mulk_i32 s4, 0x9c50
	s_waitcnt vmcnt(1) lgkmcnt(1)
	v_mul_f64 v[20:21], v[29:30], v[10:11]
	v_mul_f64 v[22:23], v[29:30], v[8:9]
	v_fma_f64 v[18:19], v[27:28], v[8:9], v[20:21]
	v_fma_f64 v[20:21], v[27:28], v[10:11], -v[22:23]
	ds_read_b128 v[8:11], v254 offset:8800
	v_mul_f64 v[4:5], v[18:19], s[0:1]
	ds_read_b128 v[16:19], v254 offset:9680
	buffer_load_dword v30, off, s[44:47], 0 offset:196 ; 4-byte Folded Reload
	buffer_load_dword v31, off, s[44:47], 0 offset:200 ; 4-byte Folded Reload
	;; [unrolled: 1-line block ×4, first 2 shown]
	v_mul_f64 v[6:7], v[20:21], s[0:1]
	ds_read_b128 v[20:23], v254 offset:13200
	s_waitcnt vmcnt(0) lgkmcnt(2)
	v_mul_f64 v[26:27], v[32:33], v[10:11]
	v_mul_f64 v[28:29], v[32:33], v[8:9]
	v_fma_f64 v[26:27], v[30:31], v[8:9], v[26:27]
	v_fma_f64 v[28:29], v[30:31], v[10:11], -v[28:29]
	ds_read_b128 v[8:11], v254 offset:12320
	buffer_load_dword v36, off, s[44:47], 0 offset:180 ; 4-byte Folded Reload
	buffer_load_dword v37, off, s[44:47], 0 offset:184 ; 4-byte Folded Reload
	;; [unrolled: 1-line block ×4, first 2 shown]
	s_waitcnt vmcnt(0) lgkmcnt(1)
	v_mul_f64 v[30:31], v[38:39], v[22:23]
	v_mul_f64 v[32:33], v[38:39], v[20:21]
	global_store_dwordx4 v[34:35], v[4:7], off
	v_mov_b32_e32 v38, s2
	v_mul_f64 v[4:5], v[26:27], s[0:1]
	v_mul_f64 v[6:7], v[28:29], s[0:1]
	ds_read_b128 v[24:27], v254 offset:17600
	v_add_co_u32_e32 v34, vcc, s3, v34
	v_fma_f64 v[28:29], v[36:37], v[20:21], v[30:31]
	v_fma_f64 v[30:31], v[36:37], v[22:23], -v[32:33]
	ds_read_b128 v[20:23], v254 offset:18480
	buffer_load_dword v39, off, s[44:47], 0 offset:228 ; 4-byte Folded Reload
	buffer_load_dword v40, off, s[44:47], 0 offset:232 ; 4-byte Folded Reload
	;; [unrolled: 1-line block ×4, first 2 shown]
	v_addc_co_u32_e32 v35, vcc, v35, v38, vcc
	global_store_dwordx4 v[34:35], v[4:7], off
	s_waitcnt vmcnt(1) lgkmcnt(1)
	v_mul_f64 v[32:33], v[41:42], v[26:27]
	v_mul_f64 v[36:37], v[41:42], v[24:25]
	;; [unrolled: 1-line block ×4, first 2 shown]
	ds_read_b128 v[28:31], v254 offset:22000
	v_add_co_u32_e32 v42, vcc, s3, v34
	v_addc_co_u32_e32 v43, vcc, v35, v43, vcc
	v_fma_f64 v[32:33], v[39:40], v[24:25], v[32:33]
	v_fma_f64 v[36:37], v[39:40], v[26:27], -v[36:37]
	ds_read_b128 v[24:27], v254 offset:21120
	buffer_load_dword v44, off, s[44:47], 0 offset:212 ; 4-byte Folded Reload
	buffer_load_dword v45, off, s[44:47], 0 offset:216 ; 4-byte Folded Reload
	;; [unrolled: 1-line block ×4, first 2 shown]
	s_waitcnt vmcnt(0) lgkmcnt(1)
	v_mul_f64 v[38:39], v[46:47], v[30:31]
	v_mul_f64 v[40:41], v[46:47], v[28:29]
	global_store_dwordx4 v[42:43], v[4:7], off
	v_mov_b32_e32 v46, s2
	v_mul_f64 v[4:5], v[32:33], s[0:1]
	v_mul_f64 v[6:7], v[36:37], s[0:1]
	ds_read_b128 v[32:35], v254 offset:26400
	v_add_co_u32_e32 v42, vcc, s3, v42
	v_fma_f64 v[36:37], v[44:45], v[28:29], v[38:39]
	v_fma_f64 v[38:39], v[44:45], v[30:31], -v[40:41]
	ds_read_b128 v[28:31], v254 offset:27280
	buffer_load_dword v47, off, s[44:47], 0 offset:244 ; 4-byte Folded Reload
	buffer_load_dword v48, off, s[44:47], 0 offset:248 ; 4-byte Folded Reload
	;; [unrolled: 1-line block ×4, first 2 shown]
	v_addc_co_u32_e32 v43, vcc, v43, v46, vcc
	global_store_dwordx4 v[42:43], v[4:7], off
	s_waitcnt vmcnt(1) lgkmcnt(1)
	v_mul_f64 v[40:41], v[49:50], v[34:35]
	v_mul_f64 v[44:45], v[49:50], v[32:33]
	;; [unrolled: 1-line block ×4, first 2 shown]
	v_fma_f64 v[32:33], v[47:48], v[32:33], v[40:41]
	v_fma_f64 v[34:35], v[47:48], v[34:35], -v[44:45]
	buffer_load_dword v47, off, s[44:47], 0 offset:260 ; 4-byte Folded Reload
	buffer_load_dword v48, off, s[44:47], 0 offset:264 ; 4-byte Folded Reload
	;; [unrolled: 1-line block ×4, first 2 shown]
	v_add_co_u32_e32 v40, vcc, s3, v42
	v_addc_co_u32_e32 v41, vcc, v43, v46, vcc
	global_store_dwordx4 v[40:41], v[4:7], off
	v_mov_b32_e32 v42, s2
	v_mul_f64 v[4:5], v[32:33], s[0:1]
	v_mul_f64 v[6:7], v[34:35], s[0:1]
	s_waitcnt vmcnt(1)
	v_mul_f64 v[36:37], v[49:50], v[2:3]
	v_mul_f64 v[38:39], v[49:50], v[0:1]
	v_fma_f64 v[32:33], v[47:48], v[0:1], v[36:37]
	v_fma_f64 v[34:35], v[47:48], v[2:3], -v[38:39]
	v_add_co_u32_e32 v36, vcc, s3, v40
	v_addc_co_u32_e32 v37, vcc, v41, v42, vcc
	global_store_dwordx4 v[36:37], v[4:7], off
	ds_read_b128 v[0:3], v254 offset:5280
	v_mul_f64 v[4:5], v[32:33], s[0:1]
	v_mul_f64 v[6:7], v[34:35], s[0:1]
	ds_read_b128 v[32:35], v254 offset:6160
	buffer_load_dword v43, off, s[44:47], 0 offset:276 ; 4-byte Folded Reload
	buffer_load_dword v44, off, s[44:47], 0 offset:280 ; 4-byte Folded Reload
	;; [unrolled: 1-line block ×4, first 2 shown]
	v_mov_b32_e32 v42, s5
	v_add_co_u32_e32 v36, vcc, s4, v36
	v_addc_co_u32_e32 v37, vcc, v37, v42, vcc
	s_waitcnt vmcnt(0) lgkmcnt(1)
	v_mul_f64 v[38:39], v[45:46], v[2:3]
	v_mul_f64 v[40:41], v[45:46], v[0:1]
	v_fma_f64 v[0:1], v[43:44], v[0:1], v[38:39]
	v_fma_f64 v[2:3], v[43:44], v[2:3], -v[40:41]
	buffer_load_dword v43, off, s[44:47], 0 offset:292 ; 4-byte Folded Reload
	buffer_load_dword v44, off, s[44:47], 0 offset:296 ; 4-byte Folded Reload
	;; [unrolled: 1-line block ×4, first 2 shown]
	v_mul_f64 v[0:1], v[0:1], s[0:1]
	global_store_dwordx4 v[36:37], v[4:7], off
	ds_read_b128 v[4:7], v254 offset:14080
	v_mul_f64 v[2:3], v[2:3], s[0:1]
	v_add_co_u32_e32 v36, vcc, s3, v36
	s_waitcnt vmcnt(1)
	v_mul_f64 v[38:39], v[45:46], v[18:19]
	v_mul_f64 v[40:41], v[45:46], v[16:17]
	v_mov_b32_e32 v46, s2
	v_addc_co_u32_e32 v37, vcc, v37, v46, vcc
	v_fma_f64 v[38:39], v[43:44], v[16:17], v[38:39]
	v_fma_f64 v[40:41], v[43:44], v[18:19], -v[40:41]
	ds_read_b128 v[16:19], v254 offset:14960
	buffer_load_dword v47, off, s[44:47], 0 offset:308 ; 4-byte Folded Reload
	buffer_load_dword v48, off, s[44:47], 0 offset:312 ; 4-byte Folded Reload
	;; [unrolled: 1-line block ×4, first 2 shown]
	s_waitcnt vmcnt(0) lgkmcnt(1)
	v_mul_f64 v[42:43], v[49:50], v[6:7]
	v_mul_f64 v[44:45], v[49:50], v[4:5]
	global_store_dwordx4 v[36:37], v[0:3], off
	v_add_co_u32_e32 v36, vcc, s3, v36
	v_mul_f64 v[0:1], v[38:39], s[0:1]
	v_mul_f64 v[2:3], v[40:41], s[0:1]
	v_addc_co_u32_e32 v37, vcc, v37, v46, vcc
	v_fma_f64 v[4:5], v[47:48], v[4:5], v[42:43]
	v_fma_f64 v[6:7], v[47:48], v[6:7], -v[44:45]
	buffer_load_dword v42, off, s[44:47], 0 offset:324 ; 4-byte Folded Reload
	buffer_load_dword v43, off, s[44:47], 0 offset:328 ; 4-byte Folded Reload
	;; [unrolled: 1-line block ×4, first 2 shown]
	s_waitcnt vmcnt(0)
	v_mul_f64 v[38:39], v[44:45], v[22:23]
	v_mul_f64 v[40:41], v[44:45], v[20:21]
	global_store_dwordx4 v[36:37], v[0:3], off
	v_add_co_u32_e32 v36, vcc, s3, v36
	v_mul_f64 v[0:1], v[4:5], s[0:1]
	v_mul_f64 v[2:3], v[6:7], s[0:1]
	ds_read_b128 v[4:7], v254 offset:22880
	v_fma_f64 v[38:39], v[42:43], v[20:21], v[38:39]
	v_fma_f64 v[40:41], v[42:43], v[22:23], -v[40:41]
	ds_read_b128 v[20:23], v254 offset:23760
	buffer_load_dword v47, off, s[44:47], 0 offset:340 ; 4-byte Folded Reload
	buffer_load_dword v48, off, s[44:47], 0 offset:344 ; 4-byte Folded Reload
	;; [unrolled: 1-line block ×4, first 2 shown]
	v_addc_co_u32_e32 v37, vcc, v37, v46, vcc
	global_store_dwordx4 v[36:37], v[0:3], off
	v_add_co_u32_e32 v36, vcc, s3, v36
	v_mul_f64 v[0:1], v[38:39], s[0:1]
	v_mul_f64 v[2:3], v[40:41], s[0:1]
	v_addc_co_u32_e32 v37, vcc, v37, v46, vcc
	s_waitcnt vmcnt(1) lgkmcnt(1)
	v_mul_f64 v[42:43], v[49:50], v[6:7]
	v_mul_f64 v[44:45], v[49:50], v[4:5]
	v_fma_f64 v[4:5], v[47:48], v[4:5], v[42:43]
	v_fma_f64 v[6:7], v[47:48], v[6:7], -v[44:45]
	buffer_load_dword v42, off, s[44:47], 0 offset:356 ; 4-byte Folded Reload
	buffer_load_dword v43, off, s[44:47], 0 offset:360 ; 4-byte Folded Reload
	;; [unrolled: 1-line block ×4, first 2 shown]
	s_waitcnt vmcnt(0)
	v_mul_f64 v[38:39], v[44:45], v[30:31]
	v_mul_f64 v[40:41], v[44:45], v[28:29]
	global_store_dwordx4 v[36:37], v[0:3], off
	v_add_co_u32_e32 v36, vcc, s3, v36
	v_mul_f64 v[0:1], v[4:5], s[0:1]
	v_mul_f64 v[2:3], v[6:7], s[0:1]
	ds_read_b128 v[4:7], v254 offset:1760
	v_fma_f64 v[38:39], v[42:43], v[28:29], v[38:39]
	v_fma_f64 v[40:41], v[42:43], v[30:31], -v[40:41]
	ds_read_b128 v[28:31], v254 offset:2640
	buffer_load_dword v47, off, s[44:47], 0 offset:372 ; 4-byte Folded Reload
	buffer_load_dword v48, off, s[44:47], 0 offset:376 ; 4-byte Folded Reload
	;; [unrolled: 1-line block ×4, first 2 shown]
	v_addc_co_u32_e32 v37, vcc, v37, v46, vcc
	global_store_dwordx4 v[36:37], v[0:3], off
	v_add_co_u32_e32 v36, vcc, s3, v36
	v_mul_f64 v[0:1], v[38:39], s[0:1]
	v_mul_f64 v[2:3], v[40:41], s[0:1]
	v_addc_co_u32_e32 v37, vcc, v37, v46, vcc
	v_mov_b32_e32 v46, s5
	s_waitcnt vmcnt(1) lgkmcnt(1)
	v_mul_f64 v[42:43], v[49:50], v[6:7]
	v_mul_f64 v[44:45], v[49:50], v[4:5]
	v_fma_f64 v[4:5], v[47:48], v[4:5], v[42:43]
	v_fma_f64 v[6:7], v[47:48], v[6:7], -v[44:45]
	buffer_load_dword v42, off, s[44:47], 0 offset:388 ; 4-byte Folded Reload
	buffer_load_dword v43, off, s[44:47], 0 offset:392 ; 4-byte Folded Reload
	;; [unrolled: 1-line block ×4, first 2 shown]
	s_waitcnt vmcnt(0)
	v_mul_f64 v[38:39], v[44:45], v[34:35]
	v_mul_f64 v[40:41], v[44:45], v[32:33]
	global_store_dwordx4 v[36:37], v[0:3], off
	v_add_co_u32_e32 v36, vcc, s4, v36
	v_mul_f64 v[0:1], v[4:5], s[0:1]
	v_mul_f64 v[2:3], v[6:7], s[0:1]
	ds_read_b128 v[4:7], v254 offset:10560
	v_fma_f64 v[38:39], v[42:43], v[32:33], v[38:39]
	v_fma_f64 v[40:41], v[42:43], v[34:35], -v[40:41]
	ds_read_b128 v[32:35], v254 offset:11440
	buffer_load_dword v47, off, s[44:47], 0 offset:404 ; 4-byte Folded Reload
	buffer_load_dword v48, off, s[44:47], 0 offset:408 ; 4-byte Folded Reload
	;; [unrolled: 1-line block ×4, first 2 shown]
	v_addc_co_u32_e32 v37, vcc, v37, v46, vcc
	global_store_dwordx4 v[36:37], v[0:3], off
	v_mov_b32_e32 v46, s2
	v_mul_f64 v[0:1], v[38:39], s[0:1]
	v_mul_f64 v[2:3], v[40:41], s[0:1]
	v_add_co_u32_e32 v36, vcc, s3, v36
	v_addc_co_u32_e32 v37, vcc, v37, v46, vcc
	s_waitcnt vmcnt(1) lgkmcnt(1)
	v_mul_f64 v[42:43], v[49:50], v[6:7]
	v_mul_f64 v[44:45], v[49:50], v[4:5]
	v_fma_f64 v[4:5], v[47:48], v[4:5], v[42:43]
	v_fma_f64 v[6:7], v[47:48], v[6:7], -v[44:45]
	buffer_load_dword v42, off, s[44:47], 0 offset:420 ; 4-byte Folded Reload
	buffer_load_dword v43, off, s[44:47], 0 offset:424 ; 4-byte Folded Reload
	;; [unrolled: 1-line block ×4, first 2 shown]
	s_waitcnt vmcnt(0)
	v_mul_f64 v[38:39], v[44:45], v[18:19]
	v_mul_f64 v[40:41], v[44:45], v[16:17]
	global_store_dwordx4 v[36:37], v[0:3], off
	v_add_co_u32_e32 v36, vcc, s3, v36
	v_mul_f64 v[0:1], v[4:5], s[0:1]
	v_mul_f64 v[2:3], v[6:7], s[0:1]
	ds_read_b128 v[4:7], v254 offset:19360
	v_fma_f64 v[38:39], v[42:43], v[16:17], v[38:39]
	v_fma_f64 v[40:41], v[42:43], v[18:19], -v[40:41]
	ds_read_b128 v[16:19], v254 offset:20240
	buffer_load_dword v47, off, s[44:47], 0 offset:436 ; 4-byte Folded Reload
	buffer_load_dword v48, off, s[44:47], 0 offset:440 ; 4-byte Folded Reload
	;; [unrolled: 1-line block ×4, first 2 shown]
	v_addc_co_u32_e32 v37, vcc, v37, v46, vcc
	global_store_dwordx4 v[36:37], v[0:3], off
	v_add_co_u32_e32 v36, vcc, s3, v36
	v_mul_f64 v[0:1], v[38:39], s[0:1]
	v_mul_f64 v[2:3], v[40:41], s[0:1]
	v_addc_co_u32_e32 v37, vcc, v37, v46, vcc
	s_waitcnt vmcnt(1) lgkmcnt(1)
	v_mul_f64 v[42:43], v[49:50], v[6:7]
	v_mul_f64 v[44:45], v[49:50], v[4:5]
	v_fma_f64 v[4:5], v[47:48], v[4:5], v[42:43]
	v_fma_f64 v[6:7], v[47:48], v[6:7], -v[44:45]
	buffer_load_dword v42, off, s[44:47], 0 offset:452 ; 4-byte Folded Reload
	buffer_load_dword v43, off, s[44:47], 0 offset:456 ; 4-byte Folded Reload
	;; [unrolled: 1-line block ×4, first 2 shown]
	s_waitcnt vmcnt(0)
	v_mul_f64 v[38:39], v[44:45], v[22:23]
	v_mul_f64 v[40:41], v[44:45], v[20:21]
	global_store_dwordx4 v[36:37], v[0:3], off
	v_add_co_u32_e32 v36, vcc, s3, v36
	v_mul_f64 v[0:1], v[4:5], s[0:1]
	v_mul_f64 v[2:3], v[6:7], s[0:1]
	ds_read_b128 v[4:7], v254 offset:28160
	v_fma_f64 v[38:39], v[42:43], v[20:21], v[38:39]
	v_fma_f64 v[40:41], v[42:43], v[22:23], -v[40:41]
	ds_read_b128 v[20:23], v254 offset:29040
	buffer_load_dword v47, off, s[44:47], 0 offset:468 ; 4-byte Folded Reload
	buffer_load_dword v48, off, s[44:47], 0 offset:472 ; 4-byte Folded Reload
	;; [unrolled: 1-line block ×4, first 2 shown]
	v_addc_co_u32_e32 v37, vcc, v37, v46, vcc
	global_store_dwordx4 v[36:37], v[0:3], off
	v_add_co_u32_e32 v36, vcc, s3, v36
	v_mul_f64 v[0:1], v[38:39], s[0:1]
	v_mul_f64 v[2:3], v[40:41], s[0:1]
	v_addc_co_u32_e32 v37, vcc, v37, v46, vcc
	s_waitcnt vmcnt(1) lgkmcnt(1)
	v_mul_f64 v[42:43], v[49:50], v[6:7]
	v_mul_f64 v[44:45], v[49:50], v[4:5]
	v_fma_f64 v[4:5], v[47:48], v[4:5], v[42:43]
	v_fma_f64 v[6:7], v[47:48], v[6:7], -v[44:45]
	buffer_load_dword v42, off, s[44:47], 0 offset:508 ; 4-byte Folded Reload
	buffer_load_dword v43, off, s[44:47], 0 offset:512 ; 4-byte Folded Reload
	;; [unrolled: 1-line block ×4, first 2 shown]
	s_waitcnt vmcnt(0)
	v_mul_f64 v[38:39], v[44:45], v[30:31]
	v_mul_f64 v[40:41], v[44:45], v[28:29]
	global_store_dwordx4 v[36:37], v[0:3], off
	v_add_co_u32_e32 v36, vcc, s3, v36
	v_mul_f64 v[0:1], v[4:5], s[0:1]
	v_mul_f64 v[2:3], v[6:7], s[0:1]
	ds_read_b128 v[4:7], v254 offset:7040
	v_fma_f64 v[38:39], v[42:43], v[28:29], v[38:39]
	v_fma_f64 v[40:41], v[42:43], v[30:31], -v[40:41]
	ds_read_b128 v[28:31], v254 offset:7920
	buffer_load_dword v47, off, s[44:47], 0 offset:524 ; 4-byte Folded Reload
	buffer_load_dword v48, off, s[44:47], 0 offset:528 ; 4-byte Folded Reload
	;; [unrolled: 1-line block ×4, first 2 shown]
	v_addc_co_u32_e32 v37, vcc, v37, v46, vcc
	global_store_dwordx4 v[36:37], v[0:3], off
	v_mov_b32_e32 v46, s5
	v_mul_f64 v[0:1], v[38:39], s[0:1]
	v_mul_f64 v[2:3], v[40:41], s[0:1]
	v_add_co_u32_e32 v36, vcc, s4, v36
	v_addc_co_u32_e32 v37, vcc, v37, v46, vcc
	v_mov_b32_e32 v46, s2
	s_waitcnt vmcnt(1) lgkmcnt(1)
	v_mul_f64 v[42:43], v[49:50], v[6:7]
	v_mul_f64 v[44:45], v[49:50], v[4:5]
	v_fma_f64 v[4:5], v[47:48], v[4:5], v[42:43]
	v_fma_f64 v[6:7], v[47:48], v[6:7], -v[44:45]
	buffer_load_dword v42, off, s[44:47], 0 offset:556 ; 4-byte Folded Reload
	buffer_load_dword v43, off, s[44:47], 0 offset:560 ; 4-byte Folded Reload
	;; [unrolled: 1-line block ×4, first 2 shown]
	s_waitcnt vmcnt(0)
	v_mul_f64 v[38:39], v[44:45], v[34:35]
	v_mul_f64 v[40:41], v[44:45], v[32:33]
	global_store_dwordx4 v[36:37], v[0:3], off
	v_add_co_u32_e32 v36, vcc, s3, v36
	v_mul_f64 v[0:1], v[4:5], s[0:1]
	v_mul_f64 v[2:3], v[6:7], s[0:1]
	ds_read_b128 v[4:7], v254 offset:15840
	v_fma_f64 v[38:39], v[42:43], v[32:33], v[38:39]
	v_fma_f64 v[40:41], v[42:43], v[34:35], -v[40:41]
	ds_read_b128 v[32:35], v254 offset:16720
	buffer_load_dword v47, off, s[44:47], 0 offset:572 ; 4-byte Folded Reload
	buffer_load_dword v48, off, s[44:47], 0 offset:576 ; 4-byte Folded Reload
	;; [unrolled: 1-line block ×4, first 2 shown]
	v_addc_co_u32_e32 v37, vcc, v37, v46, vcc
	global_store_dwordx4 v[36:37], v[0:3], off
	v_add_co_u32_e32 v36, vcc, s3, v36
	v_mul_f64 v[0:1], v[38:39], s[0:1]
	v_mul_f64 v[2:3], v[40:41], s[0:1]
	v_addc_co_u32_e32 v37, vcc, v37, v46, vcc
	s_waitcnt vmcnt(1) lgkmcnt(1)
	v_mul_f64 v[42:43], v[49:50], v[6:7]
	v_mul_f64 v[44:45], v[49:50], v[4:5]
	v_fma_f64 v[4:5], v[47:48], v[4:5], v[42:43]
	v_fma_f64 v[6:7], v[47:48], v[6:7], -v[44:45]
	buffer_load_dword v42, off, s[44:47], 0 offset:604 ; 4-byte Folded Reload
	buffer_load_dword v43, off, s[44:47], 0 offset:608 ; 4-byte Folded Reload
	;; [unrolled: 1-line block ×4, first 2 shown]
	s_waitcnt vmcnt(0)
	v_mul_f64 v[38:39], v[44:45], v[18:19]
	v_mul_f64 v[40:41], v[44:45], v[16:17]
	global_store_dwordx4 v[36:37], v[0:3], off
	v_add_co_u32_e32 v36, vcc, s3, v36
	v_mul_f64 v[0:1], v[4:5], s[0:1]
	v_mul_f64 v[2:3], v[6:7], s[0:1]
	ds_read_b128 v[4:7], v254 offset:24640
	v_fma_f64 v[38:39], v[42:43], v[16:17], v[38:39]
	v_fma_f64 v[40:41], v[42:43], v[18:19], -v[40:41]
	ds_read_b128 v[16:19], v254 offset:25520
	buffer_load_dword v47, off, s[44:47], 0 offset:492 ; 4-byte Folded Reload
	buffer_load_dword v48, off, s[44:47], 0 offset:496 ; 4-byte Folded Reload
	buffer_load_dword v49, off, s[44:47], 0 offset:500 ; 4-byte Folded Reload
	buffer_load_dword v50, off, s[44:47], 0 offset:504 ; 4-byte Folded Reload
	v_addc_co_u32_e32 v37, vcc, v37, v46, vcc
	global_store_dwordx4 v[36:37], v[0:3], off
	v_add_co_u32_e32 v36, vcc, s3, v36
	v_mul_f64 v[0:1], v[38:39], s[0:1]
	v_mul_f64 v[2:3], v[40:41], s[0:1]
	v_addc_co_u32_e32 v37, vcc, v37, v46, vcc
	s_waitcnt vmcnt(1) lgkmcnt(1)
	v_mul_f64 v[42:43], v[49:50], v[6:7]
	v_mul_f64 v[44:45], v[49:50], v[4:5]
	v_fma_f64 v[4:5], v[47:48], v[4:5], v[42:43]
	v_fma_f64 v[6:7], v[47:48], v[6:7], -v[44:45]
	buffer_load_dword v47, off, s[44:47], 0 offset:540 ; 4-byte Folded Reload
	buffer_load_dword v48, off, s[44:47], 0 offset:544 ; 4-byte Folded Reload
	;; [unrolled: 1-line block ×4, first 2 shown]
	v_mov_b32_e32 v42, s2
	global_store_dwordx4 v[36:37], v[0:3], off
	buffer_load_dword v43, off, s[44:47], 0 offset:588 ; 4-byte Folded Reload
	buffer_load_dword v44, off, s[44:47], 0 offset:592 ; 4-byte Folded Reload
	;; [unrolled: 1-line block ×4, first 2 shown]
	v_add_co_u32_e32 v36, vcc, s3, v36
	v_mul_f64 v[0:1], v[4:5], s[0:1]
	v_mul_f64 v[2:3], v[6:7], s[0:1]
	v_addc_co_u32_e32 v37, vcc, v37, v42, vcc
	global_store_dwordx4 v[36:37], v[0:3], off
	s_waitcnt vmcnt(6)
	v_mul_f64 v[38:39], v[49:50], v[22:23]
	v_mul_f64 v[40:41], v[49:50], v[20:21]
	v_fma_f64 v[4:5], v[47:48], v[20:21], v[38:39]
	v_fma_f64 v[6:7], v[47:48], v[22:23], -v[40:41]
	buffer_load_dword v39, off, s[44:47], 0 offset:620 ; 4-byte Folded Reload
	buffer_load_dword v40, off, s[44:47], 0 offset:624 ; 4-byte Folded Reload
	buffer_load_dword v41, off, s[44:47], 0 offset:628 ; 4-byte Folded Reload
	buffer_load_dword v42, off, s[44:47], 0 offset:632 ; 4-byte Folded Reload
	s_waitcnt vmcnt(5)
	v_mul_f64 v[20:21], v[45:46], v[14:15]
	v_mul_f64 v[22:23], v[45:46], v[12:13]
	v_mov_b32_e32 v38, s2
	v_mul_f64 v[0:1], v[4:5], s[0:1]
	v_mul_f64 v[2:3], v[6:7], s[0:1]
	v_fma_f64 v[4:5], v[43:44], v[12:13], v[20:21]
	v_fma_f64 v[6:7], v[43:44], v[14:15], -v[22:23]
	v_add_co_u32_e32 v20, vcc, s3, v36
	v_addc_co_u32_e32 v21, vcc, v37, v38, vcc
	global_store_dwordx4 v[20:21], v[0:3], off
	v_mov_b32_e32 v22, s5
	v_mul_f64 v[0:1], v[4:5], s[0:1]
	v_mul_f64 v[2:3], v[6:7], s[0:1]
	v_add_co_u32_e32 v20, vcc, s4, v20
	v_addc_co_u32_e32 v21, vcc, v21, v22, vcc
	v_mov_b32_e32 v22, s2
	s_waitcnt vmcnt(1)
	v_mul_f64 v[12:13], v[41:42], v[30:31]
	v_mul_f64 v[14:15], v[41:42], v[28:29]
	v_fma_f64 v[4:5], v[39:40], v[28:29], v[12:13]
	v_fma_f64 v[6:7], v[39:40], v[30:31], -v[14:15]
	buffer_load_dword v28, off, s[44:47], 0 offset:652 ; 4-byte Folded Reload
	buffer_load_dword v29, off, s[44:47], 0 offset:656 ; 4-byte Folded Reload
	;; [unrolled: 1-line block ×4, first 2 shown]
	s_waitcnt vmcnt(0)
	v_mul_f64 v[12:13], v[30:31], v[10:11]
	v_mul_f64 v[14:15], v[30:31], v[8:9]
	global_store_dwordx4 v[20:21], v[0:3], off
	s_nop 0
	v_mul_f64 v[0:1], v[4:5], s[0:1]
	v_mul_f64 v[2:3], v[6:7], s[0:1]
	v_fma_f64 v[4:5], v[28:29], v[8:9], v[12:13]
	v_fma_f64 v[6:7], v[28:29], v[10:11], -v[14:15]
	buffer_load_dword v28, off, s[44:47], 0 offset:668 ; 4-byte Folded Reload
	buffer_load_dword v29, off, s[44:47], 0 offset:672 ; 4-byte Folded Reload
	;; [unrolled: 1-line block ×4, first 2 shown]
	v_add_co_u32_e32 v12, vcc, s3, v20
	v_addc_co_u32_e32 v13, vcc, v21, v22, vcc
	global_store_dwordx4 v[12:13], v[0:3], off
	buffer_load_dword v20, off, s[44:47], 0 offset:684 ; 4-byte Folded Reload
	buffer_load_dword v21, off, s[44:47], 0 offset:688 ; 4-byte Folded Reload
	;; [unrolled: 1-line block ×4, first 2 shown]
	v_mul_f64 v[0:1], v[4:5], s[0:1]
	v_mul_f64 v[2:3], v[6:7], s[0:1]
	v_mov_b32_e32 v14, s2
	v_add_co_u32_e32 v12, vcc, s3, v12
	v_addc_co_u32_e32 v13, vcc, v13, v14, vcc
	global_store_dwordx4 v[12:13], v[0:3], off
	v_add_co_u32_e32 v12, vcc, s3, v12
	v_addc_co_u32_e32 v13, vcc, v13, v14, vcc
	s_waitcnt vmcnt(6)
	v_mul_f64 v[8:9], v[30:31], v[34:35]
	v_mul_f64 v[10:11], v[30:31], v[32:33]
	v_fma_f64 v[4:5], v[28:29], v[32:33], v[8:9]
	v_fma_f64 v[6:7], v[28:29], v[34:35], -v[10:11]
	s_waitcnt vmcnt(1)
	v_mul_f64 v[10:11], v[22:23], v[24:25]
	v_mul_f64 v[8:9], v[22:23], v[26:27]
	;; [unrolled: 1-line block ×4, first 2 shown]
	v_fma_f64 v[10:11], v[20:21], v[26:27], -v[10:11]
	ds_read_b128 v[4:7], v254 offset:29920
	buffer_load_dword v27, off, s[44:47], 0 offset:700 ; 4-byte Folded Reload
	buffer_load_dword v28, off, s[44:47], 0 offset:704 ; 4-byte Folded Reload
	buffer_load_dword v29, off, s[44:47], 0 offset:708 ; 4-byte Folded Reload
	buffer_load_dword v30, off, s[44:47], 0 offset:712 ; 4-byte Folded Reload
	v_fma_f64 v[8:9], v[20:21], v[24:25], v[8:9]
	v_mov_b32_e32 v26, s2
	s_waitcnt vmcnt(0) lgkmcnt(1)
	v_mul_f64 v[14:15], v[29:30], v[18:19]
	v_mul_f64 v[20:21], v[29:30], v[16:17]
	buffer_load_dword v29, off, s[44:47], 0 offset:716 ; 4-byte Folded Reload
	buffer_load_dword v30, off, s[44:47], 0 offset:720 ; 4-byte Folded Reload
	;; [unrolled: 1-line block ×4, first 2 shown]
	s_waitcnt vmcnt(0) lgkmcnt(0)
	v_mul_f64 v[22:23], v[31:32], v[6:7]
	v_mul_f64 v[24:25], v[31:32], v[4:5]
	global_store_dwordx4 v[12:13], v[0:3], off
	v_add_co_u32_e32 v12, vcc, s3, v12
	v_mul_f64 v[0:1], v[8:9], s[0:1]
	v_mul_f64 v[2:3], v[10:11], s[0:1]
	v_fma_f64 v[8:9], v[27:28], v[16:17], v[14:15]
	v_fma_f64 v[10:11], v[27:28], v[18:19], -v[20:21]
	v_fma_f64 v[4:5], v[29:30], v[4:5], v[22:23]
	v_fma_f64 v[6:7], v[29:30], v[6:7], -v[24:25]
	v_addc_co_u32_e32 v13, vcc, v13, v26, vcc
	global_store_dwordx4 v[12:13], v[0:3], off
	s_nop 0
	v_mul_f64 v[0:1], v[8:9], s[0:1]
	v_mul_f64 v[2:3], v[10:11], s[0:1]
	;; [unrolled: 1-line block ×4, first 2 shown]
	v_mov_b32_e32 v9, s2
	v_add_co_u32_e32 v8, vcc, s3, v12
	v_addc_co_u32_e32 v9, vcc, v13, v9, vcc
	global_store_dwordx4 v[8:9], v[0:3], off
	s_nop 0
	v_mov_b32_e32 v1, s2
	v_add_co_u32_e32 v0, vcc, s3, v8
	v_addc_co_u32_e32 v1, vcc, v9, v1, vcc
	global_store_dwordx4 v[0:1], v[4:7], off
.LBB0_10:
	s_endpgm
	.section	.rodata,"a",@progbits
	.p2align	6, 0x0
	.amdhsa_kernel bluestein_single_back_len1925_dim1_dp_op_CI_CI
		.amdhsa_group_segment_fixed_size 30800
		.amdhsa_private_segment_fixed_size 2080
		.amdhsa_kernarg_size 104
		.amdhsa_user_sgpr_count 6
		.amdhsa_user_sgpr_private_segment_buffer 1
		.amdhsa_user_sgpr_dispatch_ptr 0
		.amdhsa_user_sgpr_queue_ptr 0
		.amdhsa_user_sgpr_kernarg_segment_ptr 1
		.amdhsa_user_sgpr_dispatch_id 0
		.amdhsa_user_sgpr_flat_scratch_init 0
		.amdhsa_user_sgpr_private_segment_size 0
		.amdhsa_uses_dynamic_stack 0
		.amdhsa_system_sgpr_private_segment_wavefront_offset 1
		.amdhsa_system_sgpr_workgroup_id_x 1
		.amdhsa_system_sgpr_workgroup_id_y 0
		.amdhsa_system_sgpr_workgroup_id_z 0
		.amdhsa_system_sgpr_workgroup_info 0
		.amdhsa_system_vgpr_workitem_id 0
		.amdhsa_next_free_vgpr 256
		.amdhsa_next_free_sgpr 48
		.amdhsa_reserve_vcc 1
		.amdhsa_reserve_flat_scratch 0
		.amdhsa_float_round_mode_32 0
		.amdhsa_float_round_mode_16_64 0
		.amdhsa_float_denorm_mode_32 3
		.amdhsa_float_denorm_mode_16_64 3
		.amdhsa_dx10_clamp 1
		.amdhsa_ieee_mode 1
		.amdhsa_fp16_overflow 0
		.amdhsa_exception_fp_ieee_invalid_op 0
		.amdhsa_exception_fp_denorm_src 0
		.amdhsa_exception_fp_ieee_div_zero 0
		.amdhsa_exception_fp_ieee_overflow 0
		.amdhsa_exception_fp_ieee_underflow 0
		.amdhsa_exception_fp_ieee_inexact 0
		.amdhsa_exception_int_div_zero 0
	.end_amdhsa_kernel
	.text
.Lfunc_end0:
	.size	bluestein_single_back_len1925_dim1_dp_op_CI_CI, .Lfunc_end0-bluestein_single_back_len1925_dim1_dp_op_CI_CI
                                        ; -- End function
	.section	.AMDGPU.csdata,"",@progbits
; Kernel info:
; codeLenInByte = 70088
; NumSgprs: 52
; NumVgprs: 256
; ScratchSize: 2080
; MemoryBound: 0
; FloatMode: 240
; IeeeMode: 1
; LDSByteSize: 30800 bytes/workgroup (compile time only)
; SGPRBlocks: 6
; VGPRBlocks: 63
; NumSGPRsForWavesPerEU: 52
; NumVGPRsForWavesPerEU: 256
; Occupancy: 1
; WaveLimiterHint : 1
; COMPUTE_PGM_RSRC2:SCRATCH_EN: 1
; COMPUTE_PGM_RSRC2:USER_SGPR: 6
; COMPUTE_PGM_RSRC2:TRAP_HANDLER: 0
; COMPUTE_PGM_RSRC2:TGID_X_EN: 1
; COMPUTE_PGM_RSRC2:TGID_Y_EN: 0
; COMPUTE_PGM_RSRC2:TGID_Z_EN: 0
; COMPUTE_PGM_RSRC2:TIDIG_COMP_CNT: 0
	.type	__hip_cuid_747348cf63e3f347,@object ; @__hip_cuid_747348cf63e3f347
	.section	.bss,"aw",@nobits
	.globl	__hip_cuid_747348cf63e3f347
__hip_cuid_747348cf63e3f347:
	.byte	0                               ; 0x0
	.size	__hip_cuid_747348cf63e3f347, 1

	.ident	"AMD clang version 19.0.0git (https://github.com/RadeonOpenCompute/llvm-project roc-6.4.0 25133 c7fe45cf4b819c5991fe208aaa96edf142730f1d)"
	.section	".note.GNU-stack","",@progbits
	.addrsig
	.addrsig_sym __hip_cuid_747348cf63e3f347
	.amdgpu_metadata
---
amdhsa.kernels:
  - .args:
      - .actual_access:  read_only
        .address_space:  global
        .offset:         0
        .size:           8
        .value_kind:     global_buffer
      - .actual_access:  read_only
        .address_space:  global
        .offset:         8
        .size:           8
        .value_kind:     global_buffer
      - .actual_access:  read_only
        .address_space:  global
        .offset:         16
        .size:           8
        .value_kind:     global_buffer
      - .actual_access:  read_only
        .address_space:  global
        .offset:         24
        .size:           8
        .value_kind:     global_buffer
      - .actual_access:  read_only
        .address_space:  global
        .offset:         32
        .size:           8
        .value_kind:     global_buffer
      - .offset:         40
        .size:           8
        .value_kind:     by_value
      - .address_space:  global
        .offset:         48
        .size:           8
        .value_kind:     global_buffer
      - .address_space:  global
        .offset:         56
        .size:           8
        .value_kind:     global_buffer
      - .address_space:  global
        .offset:         64
        .size:           8
        .value_kind:     global_buffer
      - .address_space:  global
        .offset:         72
        .size:           8
        .value_kind:     global_buffer
      - .offset:         80
        .size:           4
        .value_kind:     by_value
      - .address_space:  global
        .offset:         88
        .size:           8
        .value_kind:     global_buffer
      - .address_space:  global
        .offset:         96
        .size:           8
        .value_kind:     global_buffer
    .group_segment_fixed_size: 30800
    .kernarg_segment_align: 8
    .kernarg_segment_size: 104
    .language:       OpenCL C
    .language_version:
      - 2
      - 0
    .max_flat_workgroup_size: 55
    .name:           bluestein_single_back_len1925_dim1_dp_op_CI_CI
    .private_segment_fixed_size: 2080
    .sgpr_count:     52
    .sgpr_spill_count: 0
    .symbol:         bluestein_single_back_len1925_dim1_dp_op_CI_CI.kd
    .uniform_work_group_size: 1
    .uses_dynamic_stack: false
    .vgpr_count:     256
    .vgpr_spill_count: 576
    .wavefront_size: 64
amdhsa.target:   amdgcn-amd-amdhsa--gfx906
amdhsa.version:
  - 1
  - 2
...

	.end_amdgpu_metadata
